;; amdgpu-corpus repo=ROCm/rocFFT kind=compiled arch=gfx906 opt=O3
	.text
	.amdgcn_target "amdgcn-amd-amdhsa--gfx906"
	.amdhsa_code_object_version 6
	.protected	bluestein_single_back_len484_dim1_sp_op_CI_CI ; -- Begin function bluestein_single_back_len484_dim1_sp_op_CI_CI
	.globl	bluestein_single_back_len484_dim1_sp_op_CI_CI
	.p2align	8
	.type	bluestein_single_back_len484_dim1_sp_op_CI_CI,@function
bluestein_single_back_len484_dim1_sp_op_CI_CI: ; @bluestein_single_back_len484_dim1_sp_op_CI_CI
; %bb.0:
	s_load_dwordx4 s[12:15], s[4:5], 0x28
	v_mul_u32_u24_e32 v1, 0x5d2, v0
	v_add_u32_sdwa v76, s6, v1 dst_sel:DWORD dst_unused:UNUSED_PAD src0_sel:DWORD src1_sel:WORD_1
	v_mov_b32_e32 v77, 0
	s_waitcnt lgkmcnt(0)
	v_cmp_gt_u64_e32 vcc, s[12:13], v[76:77]
	s_and_saveexec_b64 s[0:1], vcc
	s_cbranch_execz .LBB0_15
; %bb.1:
	s_load_dwordx4 s[0:3], s[4:5], 0x18
	s_load_dwordx2 s[12:13], s[4:5], 0x0
	v_mov_b32_e32 v2, 44
	v_mul_lo_u16_sdwa v1, v1, v2 dst_sel:DWORD dst_unused:UNUSED_PAD src0_sel:WORD_1 src1_sel:DWORD
	v_sub_u16_e32 v84, v0, v1
	s_waitcnt lgkmcnt(0)
	s_load_dwordx4 s[8:11], s[0:1], 0x0
	v_lshlrev_b32_e32 v83, 3, v84
	global_load_dwordx2 v[81:82], v83, s[12:13]
	global_load_dwordx2 v[79:80], v83, s[12:13] offset:968
	global_load_dwordx2 v[74:75], v83, s[12:13] offset:1936
	s_waitcnt lgkmcnt(0)
	v_mad_u64_u32 v[0:1], s[0:1], s10, v76, 0
	v_mad_u64_u32 v[2:3], s[0:1], s8, v84, 0
	v_mov_b32_e32 v18, s13
	v_mad_u64_u32 v[4:5], s[0:1], s11, v76, v[1:2]
	v_mad_u64_u32 v[5:6], s[0:1], s9, v84, v[3:4]
	v_mov_b32_e32 v1, v4
	v_lshlrev_b64 v[0:1], 3, v[0:1]
	v_mov_b32_e32 v6, s15
	v_mov_b32_e32 v3, v5
	v_add_co_u32_e32 v4, vcc, s14, v0
	v_addc_co_u32_e32 v5, vcc, v6, v1, vcc
	v_lshlrev_b64 v[0:1], 3, v[2:3]
	s_mul_i32 s0, s9, 0x79
	s_mul_hi_u32 s1, s8, 0x79
	v_add_co_u32_e32 v0, vcc, v4, v0
	s_add_i32 s1, s1, s0
	s_mul_i32 s0, s8, 0x79
	v_addc_co_u32_e32 v1, vcc, v5, v1, vcc
	s_lshl_b64 s[14:15], s[0:1], 3
	v_mov_b32_e32 v16, s15
	v_add_co_u32_e32 v2, vcc, s14, v0
	v_addc_co_u32_e32 v3, vcc, v1, v16, vcc
	v_add_co_u32_e32 v4, vcc, s14, v2
	s_mul_hi_u32 s1, s8, 0xfffffec1
	v_addc_co_u32_e32 v5, vcc, v3, v16, vcc
	s_mul_i32 s0, s9, 0xfffffec1
	s_sub_i32 s1, s1, s8
	v_add_co_u32_e32 v6, vcc, s14, v4
	s_add_i32 s1, s1, s0
	s_mul_i32 s0, s8, 0xfffffec1
	v_addc_co_u32_e32 v7, vcc, v5, v16, vcc
	s_lshl_b64 s[16:17], s[0:1], 3
	global_load_dwordx2 v[8:9], v[0:1], off
	global_load_dwordx2 v[10:11], v[2:3], off
	;; [unrolled: 1-line block ×4, first 2 shown]
	global_load_dwordx2 v[72:73], v83, s[12:13] offset:2904
	v_mov_b32_e32 v1, s17
	v_add_co_u32_e32 v0, vcc, s16, v6
	v_addc_co_u32_e32 v1, vcc, v7, v1, vcc
	global_load_dwordx2 v[2:3], v[0:1], off
	global_load_dwordx2 v[68:69], v83, s[12:13] offset:1320
	global_load_dwordx2 v[77:78], v83, s[12:13] offset:352
	v_add_co_u32_e32 v0, vcc, s14, v0
	v_addc_co_u32_e32 v1, vcc, v1, v16, vcc
	global_load_dwordx2 v[4:5], v[0:1], off
	v_add_co_u32_e32 v0, vcc, s14, v0
	v_addc_co_u32_e32 v1, vcc, v1, v16, vcc
	global_load_dwordx2 v[6:7], v[0:1], off
	global_load_dwordx2 v[66:67], v83, s[12:13] offset:3256
	global_load_dwordx2 v[70:71], v83, s[12:13] offset:2288
	v_add_co_u32_e32 v0, vcc, s14, v0
	v_addc_co_u32_e32 v1, vcc, v1, v16, vcc
	global_load_dwordx2 v[16:17], v[0:1], off
	v_add_co_u32_e32 v64, vcc, s12, v83
	v_addc_co_u32_e32 v65, vcc, 0, v18, vcc
	s_load_dwordx2 s[6:7], s[4:5], 0x38
	s_load_dwordx4 s[8:11], s[2:3], 0x0
	v_cmp_gt_u16_e64 s[0:1], 33, v84
	s_waitcnt vmcnt(12)
	v_mul_f32_e32 v18, v9, v82
	v_mul_f32_e32 v19, v8, v82
	v_fmac_f32_e32 v18, v8, v81
	v_fma_f32 v19, v9, v81, -v19
	s_waitcnt vmcnt(11)
	v_mul_f32_e32 v8, v11, v80
	v_mul_f32_e32 v9, v10, v80
	v_fmac_f32_e32 v8, v10, v79
	v_fma_f32 v9, v11, v79, -v9
	ds_write_b64 v83, v[8:9] offset:968
	s_waitcnt vmcnt(8)
	v_mul_f32_e32 v8, v15, v73
	v_mul_f32_e32 v9, v14, v73
	v_fmac_f32_e32 v8, v14, v72
	v_fma_f32 v9, v15, v72, -v9
	ds_write_b64 v83, v[8:9] offset:2904
	s_waitcnt vmcnt(5)
	v_mul_f32_e32 v8, v3, v78
	v_fmac_f32_e32 v8, v2, v77
	v_mul_f32_e32 v2, v2, v78
	v_mul_f32_e32 v10, v13, v75
	;; [unrolled: 1-line block ×3, first 2 shown]
	v_fma_f32 v9, v3, v77, -v2
	s_waitcnt vmcnt(4)
	v_mul_f32_e32 v2, v5, v69
	v_mul_f32_e32 v3, v4, v69
	v_fmac_f32_e32 v10, v12, v74
	v_fma_f32 v11, v13, v74, -v11
	v_fmac_f32_e32 v2, v4, v68
	v_fma_f32 v3, v5, v68, -v3
	ds_write_b64 v83, v[10:11] offset:1936
	ds_write2_b64 v83, v[18:19], v[8:9] offset1:44
	ds_write_b64 v83, v[2:3] offset:1320
	s_waitcnt vmcnt(1)
	v_mul_f32_e32 v2, v7, v71
	v_mul_f32_e32 v3, v6, v71
	v_fmac_f32_e32 v2, v6, v70
	v_fma_f32 v3, v7, v70, -v3
	ds_write_b64 v83, v[2:3] offset:2288
	s_waitcnt vmcnt(0)
	v_mul_f32_e32 v2, v17, v67
	v_mul_f32_e32 v3, v16, v67
	v_fmac_f32_e32 v2, v16, v66
	v_fma_f32 v3, v17, v66, -v3
	ds_write_b64 v83, v[2:3] offset:3256
	s_and_saveexec_b64 s[2:3], s[0:1]
	s_cbranch_execz .LBB0_3
; %bb.2:
	v_mov_b32_e32 v2, s17
	v_add_co_u32_e32 v0, vcc, s16, v0
	v_addc_co_u32_e32 v1, vcc, v1, v2, vcc
	global_load_dwordx2 v[2:3], v[0:1], off
	v_mov_b32_e32 v14, s15
	v_add_co_u32_e32 v0, vcc, s14, v0
	v_addc_co_u32_e32 v1, vcc, v1, v14, vcc
	global_load_dwordx2 v[4:5], v[0:1], off
	global_load_dwordx2 v[6:7], v[64:65], off offset:704
	global_load_dwordx2 v[8:9], v[64:65], off offset:1672
	v_add_co_u32_e32 v0, vcc, s14, v0
	v_addc_co_u32_e32 v1, vcc, v1, v14, vcc
	global_load_dwordx2 v[10:11], v[0:1], off
	global_load_dwordx2 v[12:13], v[64:65], off offset:2640
	v_add_co_u32_e32 v0, vcc, s14, v0
	v_addc_co_u32_e32 v1, vcc, v1, v14, vcc
	global_load_dwordx2 v[14:15], v[64:65], off offset:3608
	global_load_dwordx2 v[16:17], v[0:1], off
	s_waitcnt vmcnt(5)
	v_mul_f32_e32 v0, v3, v7
	v_mul_f32_e32 v1, v2, v7
	v_fmac_f32_e32 v0, v2, v6
	v_fma_f32 v1, v3, v6, -v1
	s_waitcnt vmcnt(4)
	v_mul_f32_e32 v2, v5, v9
	v_mul_f32_e32 v3, v4, v9
	v_fmac_f32_e32 v2, v4, v8
	v_fma_f32 v3, v5, v8, -v3
	s_waitcnt vmcnt(2)
	v_mul_f32_e32 v4, v11, v13
	v_mul_f32_e32 v5, v10, v13
	ds_write2_b64 v83, v[0:1], v[2:3] offset0:88 offset1:209
	s_waitcnt vmcnt(0)
	v_mul_f32_e32 v0, v17, v15
	v_mul_f32_e32 v1, v16, v15
	v_fmac_f32_e32 v4, v10, v12
	v_fma_f32 v5, v11, v12, -v5
	v_fmac_f32_e32 v0, v16, v14
	v_fma_f32 v1, v17, v14, -v1
	v_add_u32_e32 v2, 0x800, v83
	ds_write2_b64 v2, v[4:5], v[0:1] offset0:74 offset1:195
.LBB0_3:
	s_or_b64 exec, exec, s[2:3]
	v_add_u32_e32 v4, 0x400, v83
	v_add_u32_e32 v12, 0x800, v83
	s_load_dwordx2 s[2:3], s[4:5], 0x8
	s_waitcnt lgkmcnt(0)
	; wave barrier
	s_waitcnt lgkmcnt(0)
	ds_read2_b64 v[8:11], v83 offset1:44
	ds_read2_b64 v[0:3], v83 offset0:121 offset1:165
	ds_read2_b64 v[16:19], v4 offset0:114 offset1:158
	;; [unrolled: 1-line block ×3, first 2 shown]
                                        ; implicit-def: $vgpr14
                                        ; implicit-def: $vgpr6
	s_and_saveexec_b64 s[4:5], s[0:1]
	s_cbranch_execz .LBB0_5
; %bb.4:
	ds_read2_b64 v[4:7], v83 offset0:88 offset1:209
	ds_read2_b64 v[12:15], v12 offset0:74 offset1:195
.LBB0_5:
	s_or_b64 exec, exec, s[4:5]
	s_waitcnt lgkmcnt(1)
	v_sub_f32_e32 v16, v8, v16
	v_sub_f32_e32 v17, v9, v17
	s_waitcnt lgkmcnt(0)
	v_sub_f32_e32 v20, v0, v20
	v_sub_f32_e32 v21, v1, v21
	v_fma_f32 v8, v8, 2.0, -v16
	v_fma_f32 v9, v9, 2.0, -v17
	;; [unrolled: 1-line block ×4, first 2 shown]
	v_sub_f32_e32 v24, v8, v0
	v_sub_f32_e32 v25, v9, v1
	;; [unrolled: 1-line block ×4, first 2 shown]
	v_fma_f32 v28, v8, 2.0, -v24
	v_fma_f32 v29, v9, 2.0, -v25
	;; [unrolled: 1-line block ×4, first 2 shown]
	v_sub_f32_e32 v10, v2, v22
	v_sub_f32_e32 v11, v3, v23
	;; [unrolled: 1-line block ×3, first 2 shown]
	v_add_f32_e32 v27, v17, v20
	v_fma_f32 v2, v2, 2.0, -v10
	v_fma_f32 v3, v3, 2.0, -v11
	;; [unrolled: 1-line block ×4, first 2 shown]
	v_sub_f32_e32 v16, v8, v2
	v_sub_f32_e32 v17, v9, v3
	;; [unrolled: 1-line block ×3, first 2 shown]
	v_add_f32_e32 v19, v1, v10
	v_add_co_u32_e32 v32, vcc, 0x58, v84
	v_fma_f32 v20, v8, 2.0, -v16
	v_fma_f32 v21, v9, 2.0, -v17
	;; [unrolled: 1-line block ×4, first 2 shown]
	v_sub_f32_e32 v0, v4, v12
	v_sub_f32_e32 v1, v5, v13
	;; [unrolled: 1-line block ×4, first 2 shown]
	v_lshlrev_b16_e32 v10, 2, v84
	v_lshlrev_b32_e32 v87, 5, v84
	v_sub_f32_e32 v2, v0, v9
	v_add_f32_e32 v3, v8, v1
	v_lshlrev_b32_e32 v86, 3, v10
	v_lshlrev_b32_e32 v85, 5, v32
	s_waitcnt lgkmcnt(0)
	; wave barrier
	ds_write_b128 v86, v[28:31]
	ds_write_b128 v86, v[24:27] offset:16
	ds_write_b128 v87, v[20:23] offset:1408
	;; [unrolled: 1-line block ×3, first 2 shown]
	s_and_saveexec_b64 s[4:5], s[0:1]
	s_cbranch_execz .LBB0_7
; %bb.6:
	v_fma_f32 v11, v1, 2.0, -v3
	v_fma_f32 v10, v0, 2.0, -v2
	;; [unrolled: 1-line block ×6, first 2 shown]
	v_sub_f32_e32 v1, v5, v1
	v_sub_f32_e32 v0, v4, v0
	v_fma_f32 v9, v5, 2.0, -v1
	v_fma_f32 v8, v4, 2.0, -v0
	ds_write_b128 v85, v[8:11]
	ds_write_b128 v85, v[0:3] offset:16
.LBB0_7:
	s_or_b64 exec, exec, s[4:5]
	v_and_b32_e32 v0, 3, v84
	v_mul_u32_u24_e32 v1, 10, v0
	v_lshlrev_b32_e32 v1, 3, v1
	s_waitcnt lgkmcnt(0)
	; wave barrier
	s_waitcnt lgkmcnt(0)
	global_load_dwordx4 v[16:19], v1, s[2:3]
	global_load_dwordx4 v[12:15], v1, s[2:3] offset:16
	global_load_dwordx4 v[8:11], v1, s[2:3] offset:32
	;; [unrolled: 1-line block ×4, first 2 shown]
	ds_read2_b64 v[24:27], v83 offset1:44
	ds_read2_b64 v[28:31], v83 offset0:88 offset1:132
	ds_read2_b64 v[32:35], v83 offset0:176 offset1:220
	v_add_u32_e32 v56, 0x800, v83
	ds_read_b64 v[44:45], v83 offset:3520
	ds_read2_b64 v[36:39], v56 offset0:8 offset1:52
	ds_read2_b64 v[40:43], v56 offset0:96 offset1:140
	s_mov_b32 s4, 0x3f575c64
	s_mov_b32 s5, 0x3ed4b147
	;; [unrolled: 1-line block ×5, first 2 shown]
	s_movk_i32 s17, 0x50
	s_waitcnt lgkmcnt(0)
	; wave barrier
	s_waitcnt vmcnt(4) lgkmcnt(0)
	v_mul_f32_e32 v1, v27, v17
	v_mul_f32_e32 v46, v26, v17
	;; [unrolled: 1-line block ×4, first 2 shown]
	s_waitcnt vmcnt(3)
	v_mul_f32_e32 v49, v31, v13
	v_mul_f32_e32 v51, v33, v15
	s_waitcnt vmcnt(2)
	v_mul_f32_e32 v55, v37, v11
	v_fma_f32 v1, v26, v16, -v1
	v_fmac_f32_e32 v46, v27, v16
	v_mul_f32_e32 v50, v30, v13
	v_mul_f32_e32 v52, v32, v15
	;; [unrolled: 1-line block ×3, first 2 shown]
	v_fma_f32 v28, v28, v18, -v47
	v_fmac_f32_e32 v48, v29, v18
	v_fma_f32 v29, v30, v12, -v49
	v_fma_f32 v30, v32, v14, -v51
	v_fma_f32 v32, v36, v10, -v55
	v_add_f32_e32 v27, v24, v1
	v_add_f32_e32 v36, v25, v46
	v_fmac_f32_e32 v50, v31, v12
	v_add_f32_e32 v27, v27, v28
	v_add_f32_e32 v36, v36, v48
	v_mul_f32_e32 v53, v35, v9
	v_mul_f32_e32 v54, v34, v9
	v_fmac_f32_e32 v52, v33, v14
	v_add_f32_e32 v27, v27, v29
	v_add_f32_e32 v36, v36, v50
	v_fma_f32 v31, v34, v8, -v53
	v_fmac_f32_e32 v54, v35, v8
	v_add_f32_e32 v27, v27, v30
	v_add_f32_e32 v36, v36, v52
	s_waitcnt vmcnt(1)
	v_mul_f32_e32 v58, v39, v5
	v_mul_f32_e32 v59, v38, v5
	v_fmac_f32_e32 v57, v37, v10
	v_add_f32_e32 v27, v27, v31
	v_add_f32_e32 v36, v36, v54
	v_mul_f32_e32 v60, v41, v7
	v_mul_f32_e32 v61, v40, v7
	s_waitcnt vmcnt(0)
	v_mul_f32_e32 v88, v45, v23
	v_mul_f32_e32 v89, v44, v23
	v_fma_f32 v33, v38, v4, -v58
	v_fmac_f32_e32 v59, v39, v4
	v_add_f32_e32 v27, v27, v32
	v_add_f32_e32 v36, v36, v57
	v_mul_f32_e32 v62, v43, v21
	v_mul_f32_e32 v63, v42, v21
	v_fma_f32 v34, v40, v6, -v60
	v_fmac_f32_e32 v61, v41, v6
	v_fma_f32 v26, v44, v22, -v88
	v_fmac_f32_e32 v89, v45, v22
	v_add_f32_e32 v27, v27, v33
	v_add_f32_e32 v36, v36, v59
	v_fma_f32 v35, v42, v20, -v62
	v_fmac_f32_e32 v63, v43, v20
	v_add_f32_e32 v37, v1, v26
	v_sub_f32_e32 v1, v1, v26
	v_sub_f32_e32 v39, v46, v89
	v_add_f32_e32 v27, v27, v34
	v_add_f32_e32 v36, v36, v61
	v_mul_f32_e32 v40, 0xbf0a6770, v39
	v_mul_f32_e32 v41, 0xbf0a6770, v1
	v_mul_f32_e32 v42, 0xbf68dda4, v39
	v_add_f32_e32 v27, v27, v35
	v_add_f32_e32 v36, v36, v63
	v_mul_f32_e32 v45, 0xbf68dda4, v1
	v_mul_f32_e32 v47, 0xbf7d64f0, v39
	;; [unrolled: 1-line block ×7, first 2 shown]
	v_add_f32_e32 v38, v46, v89
	v_fma_f32 v43, v37, s4, -v40
	v_mov_b32_e32 v44, v41
	v_fmac_f32_e32 v40, 0x3f575c64, v37
	v_add_f32_e32 v26, v27, v26
	v_add_f32_e32 v27, v36, v89
	v_fma_f32 v36, v37, s5, -v42
	v_mov_b32_e32 v46, v45
	v_fmac_f32_e32 v42, 0x3ed4b147, v37
	v_fma_f32 v49, v37, s14, -v47
	v_mov_b32_e32 v53, v51
	v_fmac_f32_e32 v47, 0xbe11bafb, v37
	;; [unrolled: 3-line block ×3, first 2 shown]
	v_fma_f32 v88, v37, s16, -v39
	v_fmac_f32_e32 v39, 0xbf75a155, v37
	v_mov_b32_e32 v37, v1
	v_fma_f32 v41, v38, s4, -v41
	v_fmac_f32_e32 v44, 0x3f575c64, v38
	v_fmac_f32_e32 v46, 0x3ed4b147, v38
	v_fma_f32 v45, v38, s5, -v45
	v_fmac_f32_e32 v53, 0xbe11bafb, v38
	v_fma_f32 v51, v38, s14, -v51
	;; [unrolled: 2-line block ×4, first 2 shown]
	v_add_f32_e32 v41, v25, v41
	v_add_f32_e32 v44, v25, v44
	;; [unrolled: 1-line block ×11, first 2 shown]
	v_sub_f32_e32 v28, v28, v35
	v_sub_f32_e32 v35, v48, v63
	v_add_f32_e32 v43, v24, v43
	v_add_f32_e32 v40, v24, v40
	v_add_f32_e32 v36, v24, v36
	v_add_f32_e32 v42, v24, v42
	v_add_f32_e32 v49, v24, v49
	v_add_f32_e32 v47, v24, v47
	v_add_f32_e32 v58, v24, v58
	v_add_f32_e32 v55, v24, v55
	v_add_f32_e32 v88, v24, v88
	v_add_f32_e32 v24, v24, v39
	v_mul_f32_e32 v39, 0xbf68dda4, v35
	v_add_f32_e32 v38, v48, v63
	v_fma_f32 v48, v25, s5, -v39
	v_add_f32_e32 v43, v48, v43
	v_mul_f32_e32 v48, 0xbf68dda4, v28
	v_fmac_f32_e32 v39, 0x3ed4b147, v25
	v_add_f32_e32 v39, v39, v40
	v_fma_f32 v40, v38, s5, -v48
	v_add_f32_e32 v40, v40, v41
	v_mul_f32_e32 v41, 0xbf4178ce, v35
	v_mov_b32_e32 v63, v48
	v_fma_f32 v48, v25, s15, -v41
	v_add_f32_e32 v36, v48, v36
	v_mul_f32_e32 v48, 0xbf4178ce, v28
	v_fmac_f32_e32 v41, 0xbf27a4f4, v25
	v_add_f32_e32 v41, v41, v42
	v_fma_f32 v42, v38, s15, -v48
	v_fmac_f32_e32 v63, 0x3ed4b147, v38
	v_add_f32_e32 v42, v42, v45
	v_mul_f32_e32 v45, 0x3e903f40, v35
	v_add_f32_e32 v44, v63, v44
	v_mov_b32_e32 v63, v48
	v_fma_f32 v48, v25, s16, -v45
	v_fmac_f32_e32 v63, 0xbf27a4f4, v38
	v_add_f32_e32 v48, v48, v49
	v_mul_f32_e32 v49, 0x3e903f40, v28
	v_fmac_f32_e32 v45, 0xbf75a155, v25
	v_add_f32_e32 v46, v63, v46
	v_mov_b32_e32 v63, v49
	v_add_f32_e32 v45, v45, v47
	v_fma_f32 v47, v38, s16, -v49
	v_mul_f32_e32 v49, 0x3f7d64f0, v35
	v_add_f32_e32 v47, v47, v51
	v_fma_f32 v51, v25, s14, -v49
	v_fmac_f32_e32 v63, 0xbf75a155, v38
	v_add_f32_e32 v51, v51, v58
	v_mul_f32_e32 v58, 0x3f7d64f0, v28
	v_fmac_f32_e32 v49, 0xbe11bafb, v25
	v_mul_f32_e32 v35, 0x3f0a6770, v35
	v_mul_f32_e32 v28, 0x3f0a6770, v28
	v_add_f32_e32 v53, v63, v53
	v_mov_b32_e32 v63, v58
	v_add_f32_e32 v49, v49, v55
	v_fma_f32 v55, v38, s14, -v58
	v_fma_f32 v58, v25, s4, -v35
	v_fmac_f32_e32 v35, 0x3f575c64, v25
	v_fma_f32 v25, v38, s4, -v28
	v_add_f32_e32 v1, v25, v1
	v_add_f32_e32 v25, v29, v34
	v_sub_f32_e32 v29, v29, v34
	v_sub_f32_e32 v34, v50, v61
	v_add_f32_e32 v55, v55, v60
	v_mov_b32_e32 v60, v28
	v_add_f32_e32 v24, v35, v24
	v_mul_f32_e32 v35, 0xbf7d64f0, v34
	v_fmac_f32_e32 v63, 0xbe11bafb, v38
	v_fmac_f32_e32 v60, 0x3f575c64, v38
	v_fma_f32 v38, v25, s14, -v35
	v_add_f32_e32 v28, v50, v61
	v_add_f32_e32 v38, v38, v43
	v_mul_f32_e32 v43, 0xbf7d64f0, v29
	v_fmac_f32_e32 v35, 0xbe11bafb, v25
	v_add_f32_e32 v35, v35, v39
	v_fma_f32 v39, v28, s14, -v43
	v_add_f32_e32 v39, v39, v40
	v_mul_f32_e32 v40, 0x3e903f40, v34
	v_mov_b32_e32 v50, v43
	v_fma_f32 v43, v25, s16, -v40
	v_add_f32_e32 v36, v43, v36
	v_mul_f32_e32 v43, 0x3e903f40, v29
	v_fmac_f32_e32 v40, 0xbf75a155, v25
	v_add_f32_e32 v40, v40, v41
	v_fma_f32 v41, v28, s16, -v43
	v_fmac_f32_e32 v50, 0xbe11bafb, v28
	v_add_f32_e32 v41, v41, v42
	v_mul_f32_e32 v42, 0x3f68dda4, v34
	v_add_f32_e32 v44, v50, v44
	v_mov_b32_e32 v50, v43
	v_fma_f32 v43, v25, s5, -v42
	v_add_f32_e32 v43, v43, v48
	v_mul_f32_e32 v48, 0x3f68dda4, v29
	v_fmac_f32_e32 v42, 0x3ed4b147, v25
	v_add_f32_e32 v42, v42, v45
	v_fma_f32 v45, v28, s5, -v48
	v_fmac_f32_e32 v50, 0xbf75a155, v28
	v_add_f32_e32 v45, v45, v47
	v_mul_f32_e32 v47, 0xbf0a6770, v34
	v_add_f32_e32 v46, v50, v46
	v_mov_b32_e32 v50, v48
	v_fma_f32 v48, v25, s4, -v47
	v_fmac_f32_e32 v50, 0x3ed4b147, v28
	v_add_f32_e32 v48, v48, v51
	v_mul_f32_e32 v51, 0xbf0a6770, v29
	v_fmac_f32_e32 v47, 0x3f575c64, v25
	v_mul_f32_e32 v34, 0xbf4178ce, v34
	v_mul_f32_e32 v29, 0xbf4178ce, v29
	v_add_f32_e32 v50, v50, v53
	v_mov_b32_e32 v53, v51
	v_add_f32_e32 v47, v47, v49
	v_fma_f32 v49, v28, s4, -v51
	v_fma_f32 v51, v25, s15, -v34
	v_fmac_f32_e32 v34, 0xbf27a4f4, v25
	v_fma_f32 v25, v28, s15, -v29
	v_add_f32_e32 v49, v49, v55
	v_mov_b32_e32 v55, v29
	v_add_f32_e32 v1, v25, v1
	v_add_f32_e32 v25, v30, v33
	v_sub_f32_e32 v29, v30, v33
	v_sub_f32_e32 v30, v52, v59
	v_mul_f32_e32 v33, 0xbf4178ce, v30
	v_add_f32_e32 v24, v34, v24
	v_fma_f32 v34, v25, s15, -v33
	v_fmac_f32_e32 v53, 0x3f575c64, v28
	v_fmac_f32_e32 v55, 0xbf27a4f4, v28
	v_add_f32_e32 v28, v52, v59
	v_add_f32_e32 v34, v34, v38
	v_mul_f32_e32 v38, 0xbf4178ce, v29
	v_fmac_f32_e32 v33, 0xbf27a4f4, v25
	v_mov_b32_e32 v52, v38
	v_add_f32_e32 v33, v33, v35
	v_fma_f32 v35, v28, s15, -v38
	v_mul_f32_e32 v38, 0x3f7d64f0, v30
	v_add_f32_e32 v35, v35, v39
	v_fma_f32 v39, v25, s14, -v38
	v_fmac_f32_e32 v52, 0xbf27a4f4, v28
	v_add_f32_e32 v36, v39, v36
	v_mul_f32_e32 v39, 0x3f7d64f0, v29
	v_fmac_f32_e32 v38, 0xbe11bafb, v25
	v_add_f32_e32 v44, v52, v44
	v_mov_b32_e32 v52, v39
	v_add_f32_e32 v38, v38, v40
	v_fma_f32 v39, v28, s14, -v39
	v_mul_f32_e32 v40, 0xbf0a6770, v30
	v_add_f32_e32 v39, v39, v41
	v_fma_f32 v41, v25, s4, -v40
	v_fmac_f32_e32 v52, 0xbe11bafb, v28
	v_add_f32_e32 v41, v41, v43
	v_mul_f32_e32 v43, 0xbf0a6770, v29
	v_fmac_f32_e32 v40, 0x3f575c64, v25
	v_add_f32_e32 v46, v52, v46
	v_mov_b32_e32 v52, v43
	v_add_f32_e32 v40, v40, v42
	v_fma_f32 v42, v28, s4, -v43
	v_mul_f32_e32 v43, 0xbe903f40, v30
	v_add_f32_e32 v42, v42, v45
	v_fma_f32 v45, v25, s16, -v43
	v_fmac_f32_e32 v52, 0x3f575c64, v28
	v_add_f32_e32 v45, v45, v48
	v_mul_f32_e32 v48, 0xbe903f40, v29
	v_add_f32_e32 v62, v63, v62
	v_add_f32_e32 v37, v60, v37
	;; [unrolled: 1-line block ×3, first 2 shown]
	v_mov_b32_e32 v52, v48
	v_fmac_f32_e32 v43, 0xbf75a155, v25
	v_add_f32_e32 v58, v58, v88
	v_add_f32_e32 v53, v53, v62
	;; [unrolled: 1-line block ×3, first 2 shown]
	v_fmac_f32_e32 v52, 0xbf75a155, v28
	v_add_f32_e32 v43, v43, v47
	v_fma_f32 v47, v28, s16, -v48
	v_mul_f32_e32 v30, 0x3f68dda4, v30
	v_mul_f32_e32 v29, 0x3f68dda4, v29
	v_add_f32_e32 v55, v54, v57
	v_sub_f32_e32 v54, v54, v57
	v_add_f32_e32 v51, v51, v58
	v_add_f32_e32 v52, v52, v53
	;; [unrolled: 1-line block ×3, first 2 shown]
	v_fma_f32 v48, v25, s5, -v30
	v_mov_b32_e32 v49, v29
	v_fmac_f32_e32 v30, 0x3ed4b147, v25
	v_add_f32_e32 v53, v31, v32
	v_sub_f32_e32 v58, v31, v32
	v_mul_f32_e32 v32, 0x3f0a6770, v54
	v_add_f32_e32 v48, v48, v51
	v_fmac_f32_e32 v49, 0x3ed4b147, v28
	v_add_f32_e32 v51, v30, v24
	v_fma_f32 v24, v28, s5, -v29
	v_mul_f32_e32 v28, 0xbe903f40, v54
	v_fma_f32 v30, v53, s4, -v32
	v_add_f32_e32 v1, v24, v1
	v_fma_f32 v24, v53, s16, -v28
	v_add_f32_e32 v30, v30, v36
	v_mul_f32_e32 v36, 0xbf4178ce, v54
	v_add_f32_e32 v24, v24, v34
	v_fma_f32 v34, v53, s15, -v36
	v_fmac_f32_e32 v36, 0xbf27a4f4, v53
	v_fmac_f32_e32 v32, 0x3f575c64, v53
	v_add_f32_e32 v36, v36, v40
	v_mul_f32_e32 v40, 0x3f68dda4, v54
	v_add_f32_e32 v32, v32, v38
	v_fma_f32 v38, v53, s5, -v40
	v_add_f32_e32 v38, v38, v45
	v_fmac_f32_e32 v40, 0x3ed4b147, v53
	v_mul_f32_e32 v45, 0xbf7d64f0, v58
	v_add_f32_e32 v40, v40, v43
	v_mov_b32_e32 v43, v45
	v_fma_f32 v45, v55, s14, -v45
	v_add_f32_e32 v45, v45, v1
	v_lshrrev_b32_e32 v1, 2, v84
	v_mul_u32_u24_e32 v1, 44, v1
	v_or_b32_e32 v0, v1, v0
	v_mul_f32_e32 v29, 0xbe903f40, v58
	v_fmac_f32_e32 v28, 0xbf75a155, v53
	v_lshlrev_b32_e32 v88, 3, v0
	v_mov_b32_e32 v0, s2
	v_mov_b32_e32 v25, v29
	v_add_f32_e32 v28, v28, v33
	v_mul_f32_e32 v33, 0x3f0a6770, v58
	v_mov_b32_e32 v1, s3
	v_add_f32_e32 v49, v49, v37
	v_fmac_f32_e32 v25, 0xbf75a155, v55
	v_fma_f32 v29, v55, s16, -v29
	v_mov_b32_e32 v31, v33
	v_fma_f32 v33, v55, s4, -v33
	v_add_f32_e32 v34, v34, v41
	v_mul_f32_e32 v37, 0xbf4178ce, v58
	v_mul_f32_e32 v41, 0x3f68dda4, v58
	v_mad_u64_u32 v[0:1], s[2:3], v84, s17, v[0:1]
	v_add_f32_e32 v25, v25, v44
	v_add_f32_e32 v29, v29, v35
	v_add_f32_e32 v33, v33, v39
	v_mov_b32_e32 v35, v37
	v_fma_f32 v37, v55, s15, -v37
	v_mov_b32_e32 v39, v41
	v_mul_f32_e32 v44, 0xbf7d64f0, v54
	v_fmac_f32_e32 v31, 0x3f575c64, v55
	v_fmac_f32_e32 v35, 0xbf27a4f4, v55
	v_add_f32_e32 v37, v37, v42
	v_fmac_f32_e32 v39, 0x3ed4b147, v55
	v_fma_f32 v41, v55, s5, -v41
	v_fma_f32 v42, v53, s14, -v44
	v_fmac_f32_e32 v43, 0xbe11bafb, v55
	v_add_f32_e32 v31, v31, v46
	v_add_f32_e32 v35, v35, v50
	;; [unrolled: 1-line block ×6, first 2 shown]
	v_fmac_f32_e32 v44, 0xbe11bafb, v53
	v_add_f32_e32 v44, v44, v51
	ds_write2_b64 v88, v[26:27], v[24:25] offset1:4
	ds_write2_b64 v88, v[30:31], v[34:35] offset0:8 offset1:12
	ds_write2_b64 v88, v[38:39], v[42:43] offset0:16 offset1:20
	;; [unrolled: 1-line block ×4, first 2 shown]
	ds_write_b64 v88, v[28:29] offset:320
	s_waitcnt lgkmcnt(0)
	; wave barrier
	s_waitcnt lgkmcnt(0)
	global_load_dwordx4 v[36:39], v[0:1], off offset:320
	global_load_dwordx4 v[32:35], v[0:1], off offset:336
	;; [unrolled: 1-line block ×5, first 2 shown]
	ds_read2_b64 v[44:47], v83 offset0:88 offset1:132
	ds_read2_b64 v[48:51], v83 offset0:176 offset1:220
	;; [unrolled: 1-line block ×4, first 2 shown]
	ds_read_b64 v[57:58], v83 offset:3520
	s_add_u32 s2, s12, 0xf20
	s_addc_u32 s3, s13, 0
	s_waitcnt vmcnt(4) lgkmcnt(4)
	v_mul_f32_e32 v0, v45, v39
	v_fma_f32 v59, v44, v38, -v0
	s_waitcnt vmcnt(3)
	v_mul_f32_e32 v0, v47, v33
	v_fma_f32 v94, v46, v32, -v0
	v_mul_f32_e32 v95, v46, v33
	s_waitcnt lgkmcnt(3)
	v_mul_f32_e32 v0, v49, v35
	v_fmac_f32_e32 v95, v47, v32
	v_fma_f32 v47, v48, v34, -v0
	v_mul_f32_e32 v46, v48, v35
	s_waitcnt vmcnt(1) lgkmcnt(2)
	v_mul_f32_e32 v48, v55, v25
	v_mul_f32_e32 v0, v51, v29
	v_fma_f32 v62, v54, v24, -v48
	s_waitcnt lgkmcnt(1)
	v_mul_f32_e32 v48, v90, v27
	v_fma_f32 v1, v50, v28, -v0
	v_mul_f32_e32 v0, v50, v29
	v_fma_f32 v96, v89, v26, -v48
	v_mul_f32_e32 v97, v89, v27
	s_waitcnt vmcnt(0)
	v_mul_f32_e32 v48, v92, v41
	v_fmac_f32_e32 v46, v49, v34
	v_fmac_f32_e32 v0, v51, v28
	;; [unrolled: 1-line block ×3, first 2 shown]
	v_fma_f32 v90, v91, v40, -v48
	ds_read2_b64 v[48:51], v83 offset1:44
	v_mul_f32_e32 v93, v44, v39
	v_mul_f32_e32 v44, v53, v31
	v_fmac_f32_e32 v93, v45, v38
	v_fma_f32 v45, v52, v30, -v44
	v_mul_f32_e32 v44, v52, v31
	v_mul_f32_e32 v91, v91, v41
	s_waitcnt lgkmcnt(1)
	v_mul_f32_e32 v52, v58, v43
	v_fmac_f32_e32 v91, v92, v40
	v_fma_f32 v92, v57, v42, -v52
	s_waitcnt lgkmcnt(0)
	v_mul_f32_e32 v52, v51, v37
	v_mul_f32_e32 v57, v57, v43
	v_fma_f32 v52, v50, v36, -v52
	v_mul_f32_e32 v50, v50, v37
	v_fmac_f32_e32 v57, v58, v42
	v_fmac_f32_e32 v50, v51, v36
	v_fmac_f32_e32 v44, v53, v30
	v_sub_f32_e32 v53, v50, v57
	v_sub_f32_e32 v101, v52, v92
	v_mul_f32_e32 v60, v54, v25
	v_add_f32_e32 v51, v52, v92
	v_mul_f32_e32 v54, 0xbf0a6770, v53
	v_mul_f32_e32 v58, 0xbf68dda4, v53
	;; [unrolled: 1-line block ×10, first 2 shown]
	v_fmac_f32_e32 v60, v55, v24
	v_fma_f32 v55, v51, s4, -v54
	v_fmac_f32_e32 v54, 0x3f575c64, v51
	v_fma_f32 v61, v51, s5, -v58
	;; [unrolled: 2-line block ×5, first 2 shown]
	v_fmac_f32_e32 v100, 0xbf75a155, v51
	v_add_f32_e32 v51, v50, v57
	v_mov_b32_e32 v103, v102
	v_mov_b32_e32 v105, v104
	;; [unrolled: 1-line block ×5, first 2 shown]
	v_fmac_f32_e32 v103, 0x3f575c64, v51
	v_fma_f32 v102, v51, s4, -v102
	v_fmac_f32_e32 v105, 0x3ed4b147, v51
	v_fma_f32 v104, v51, s5, -v104
	;; [unrolled: 2-line block ×5, first 2 shown]
	v_add_f32_e32 v101, v48, v52
	v_add_f32_e32 v111, v49, v50
	;; [unrolled: 1-line block ×38, first 2 shown]
	v_sub_f32_e32 v99, v93, v91
	v_add_f32_e32 v48, v48, v92
	v_add_f32_e32 v49, v49, v57
	;; [unrolled: 1-line block ×3, first 2 shown]
	v_sub_f32_e32 v98, v59, v90
	v_mul_f32_e32 v92, 0xbf68dda4, v99
	v_add_f32_e32 v101, v95, v97
	v_sub_f32_e32 v97, v95, v97
	v_add_f32_e32 v59, v93, v91
	v_fma_f32 v90, v57, s5, -v92
	v_mul_f32_e32 v93, 0xbf68dda4, v98
	v_add_f32_e32 v100, v94, v96
	v_sub_f32_e32 v96, v94, v96
	v_mul_f32_e32 v94, 0xbf7d64f0, v97
	v_add_f32_e32 v90, v90, v112
	v_mov_b32_e32 v91, v93
	v_fma_f32 v95, v100, s14, -v94
	v_fmac_f32_e32 v91, 0x3ed4b147, v59
	v_add_f32_e32 v90, v95, v90
	v_mul_f32_e32 v95, 0xbf7d64f0, v96
	v_add_f32_e32 v91, v91, v103
	v_mov_b32_e32 v103, v95
	v_fmac_f32_e32 v103, 0xbe11bafb, v101
	v_sub_f32_e32 v108, v46, v60
	v_add_f32_e32 v91, v103, v91
	v_add_f32_e32 v103, v47, v62
	v_sub_f32_e32 v62, v47, v62
	v_add_f32_e32 v106, v46, v60
	v_mul_f32_e32 v46, 0xbf4178ce, v108
	v_fma_f32 v47, v103, s15, -v46
	v_mul_f32_e32 v60, 0xbf4178ce, v62
	v_sub_f32_e32 v112, v0, v44
	v_add_f32_e32 v47, v47, v90
	v_mov_b32_e32 v90, v60
	v_add_f32_e32 v109, v1, v45
	v_add_f32_e32 v111, v0, v44
	v_mul_f32_e32 v0, 0xbe903f40, v112
	v_fmac_f32_e32 v90, 0xbf27a4f4, v106
	v_sub_f32_e32 v110, v1, v45
	v_fma_f32 v1, v109, s16, -v0
	v_add_f32_e32 v91, v90, v91
	v_add_f32_e32 v90, v1, v47
	v_mul_f32_e32 v1, 0xbe903f40, v110
	v_mov_b32_e32 v44, v1
	v_fmac_f32_e32 v44, 0xbf75a155, v111
	v_fmac_f32_e32 v92, 0x3ed4b147, v57
	v_add_f32_e32 v91, v44, v91
	v_add_f32_e32 v44, v92, v113
	v_fmac_f32_e32 v94, 0xbe11bafb, v100
	v_add_f32_e32 v44, v94, v44
	v_fmac_f32_e32 v46, 0xbf27a4f4, v103
	;; [unrolled: 2-line block ×3, first 2 shown]
	v_add_f32_e32 v0, v0, v44
	v_fma_f32 v44, v59, s5, -v93
	v_add_f32_e32 v44, v44, v102
	v_fma_f32 v45, v101, s14, -v95
	;; [unrolled: 2-line block ×4, first 2 shown]
	v_add_f32_e32 v1, v1, v44
	v_mul_f32_e32 v44, 0xbf4178ce, v99
	v_fma_f32 v45, v57, s15, -v44
	v_mul_f32_e32 v46, 0xbf4178ce, v98
	v_mul_f32_e32 v60, 0x3e903f40, v97
	v_add_f32_e32 v45, v45, v114
	v_mov_b32_e32 v47, v46
	v_fma_f32 v92, v100, s16, -v60
	v_mul_f32_e32 v94, 0x3e903f40, v96
	v_fmac_f32_e32 v47, 0xbf27a4f4, v59
	v_add_f32_e32 v45, v92, v45
	v_mov_b32_e32 v92, v94
	v_add_f32_e32 v47, v47, v105
	v_fmac_f32_e32 v92, 0xbf75a155, v101
	v_mul_f32_e32 v95, 0x3f7d64f0, v108
	v_add_f32_e32 v47, v92, v47
	v_fma_f32 v92, v103, s14, -v95
	v_mul_f32_e32 v102, 0x3f7d64f0, v62
	v_add_f32_e32 v45, v92, v45
	v_mov_b32_e32 v92, v102
	v_fmac_f32_e32 v92, 0xbe11bafb, v106
	v_mul_f32_e32 v105, 0x3f0a6770, v112
	v_add_f32_e32 v47, v92, v47
	v_fma_f32 v92, v109, s4, -v105
	v_add_f32_e32 v92, v92, v45
	v_mul_f32_e32 v45, 0x3f0a6770, v110
	v_mov_b32_e32 v93, v45
	v_fmac_f32_e32 v44, 0xbf27a4f4, v57
	v_fmac_f32_e32 v93, 0x3f575c64, v111
	v_add_f32_e32 v44, v44, v115
	v_fma_f32 v46, v59, s15, -v46
	v_fmac_f32_e32 v60, 0xbf75a155, v100
	v_add_f32_e32 v93, v93, v47
	v_add_f32_e32 v46, v46, v104
	;; [unrolled: 1-line block ×3, first 2 shown]
	v_fma_f32 v47, v101, s16, -v94
	v_fmac_f32_e32 v95, 0xbe11bafb, v103
	v_add_f32_e32 v46, v47, v46
	v_add_f32_e32 v44, v95, v44
	v_fma_f32 v47, v106, s14, -v102
	v_fmac_f32_e32 v105, 0x3f575c64, v109
	v_add_f32_e32 v47, v47, v46
	v_fma_f32 v45, v111, s4, -v45
	v_add_f32_e32 v46, v105, v44
	v_mul_f32_e32 v44, 0x3e903f40, v99
	v_add_f32_e32 v47, v45, v47
	v_fma_f32 v45, v57, s16, -v44
	v_mul_f32_e32 v60, 0x3e903f40, v98
	v_mul_f32_e32 v102, 0x3f68dda4, v97
	v_add_f32_e32 v45, v45, v116
	v_mov_b32_e32 v94, v60
	v_fma_f32 v95, v100, s5, -v102
	v_mul_f32_e32 v104, 0x3f68dda4, v96
	v_fmac_f32_e32 v94, 0xbf75a155, v59
	v_add_f32_e32 v45, v95, v45
	v_mov_b32_e32 v95, v104
	v_add_f32_e32 v94, v94, v107
	v_fmac_f32_e32 v95, 0x3ed4b147, v101
	v_mul_f32_e32 v105, 0xbf0a6770, v108
	v_add_f32_e32 v94, v95, v94
	v_fma_f32 v95, v103, s4, -v105
	v_mul_f32_e32 v107, 0xbf0a6770, v62
	v_add_f32_e32 v45, v95, v45
	v_mov_b32_e32 v95, v107
	v_fmac_f32_e32 v95, 0x3f575c64, v106
	v_mul_f32_e32 v113, 0xbf4178ce, v112
	v_fma_f32 v60, v59, s16, -v60
	v_add_f32_e32 v95, v95, v94
	v_fma_f32 v94, v109, s15, -v113
	v_add_f32_e32 v60, v60, v63
	;; [unrolled: 2-line block ×3, first 2 shown]
	v_mul_f32_e32 v45, 0xbf4178ce, v110
	v_add_f32_e32 v60, v63, v60
	v_fma_f32 v63, v106, s4, -v107
	v_mov_b32_e32 v114, v45
	v_fmac_f32_e32 v44, 0xbf75a155, v57
	v_add_f32_e32 v60, v63, v60
	v_fma_f32 v45, v111, s15, -v45
	v_mul_f32_e32 v63, 0x3f7d64f0, v99
	v_add_f32_e32 v44, v44, v89
	v_add_f32_e32 v45, v45, v60
	v_fma_f32 v60, v57, s14, -v63
	v_mul_f32_e32 v89, 0x3f7d64f0, v98
	v_fmac_f32_e32 v102, 0x3ed4b147, v100
	v_add_f32_e32 v60, v60, v61
	v_mov_b32_e32 v61, v89
	v_add_f32_e32 v44, v102, v44
	v_fmac_f32_e32 v61, 0xbe11bafb, v59
	v_mul_f32_e32 v102, 0xbf0a6770, v97
	v_add_f32_e32 v58, v61, v58
	v_fma_f32 v61, v100, s4, -v102
	v_mul_f32_e32 v104, 0xbf0a6770, v96
	v_fmac_f32_e32 v105, 0x3f575c64, v103
	v_add_f32_e32 v60, v61, v60
	v_mov_b32_e32 v61, v104
	v_add_f32_e32 v44, v105, v44
	v_fmac_f32_e32 v61, 0x3f575c64, v101
	v_mul_f32_e32 v105, 0xbe903f40, v108
	v_add_f32_e32 v58, v61, v58
	v_fma_f32 v61, v103, s16, -v105
	v_mul_f32_e32 v107, 0xbe903f40, v62
	v_fmac_f32_e32 v113, 0xbf27a4f4, v109
	v_add_f32_e32 v60, v61, v60
	v_mov_b32_e32 v61, v107
	v_fmac_f32_e32 v114, 0xbf27a4f4, v111
	v_add_f32_e32 v44, v113, v44
	v_fmac_f32_e32 v61, 0xbf75a155, v106
	v_mul_f32_e32 v113, 0x3f68dda4, v112
	v_add_f32_e32 v95, v114, v95
	v_add_f32_e32 v58, v61, v58
	v_fma_f32 v61, v109, s5, -v113
	v_mul_f32_e32 v114, 0x3f68dda4, v110
	v_add_f32_e32 v60, v61, v60
	v_mov_b32_e32 v61, v114
	v_fmac_f32_e32 v61, 0x3ed4b147, v111
	v_fmac_f32_e32 v63, 0xbe11bafb, v57
	v_add_f32_e32 v61, v61, v58
	v_add_f32_e32 v55, v63, v55
	v_fma_f32 v58, v59, s14, -v89
	v_fmac_f32_e32 v102, 0x3f575c64, v100
	v_add_f32_e32 v54, v58, v54
	v_add_f32_e32 v55, v102, v55
	v_fma_f32 v58, v101, s4, -v104
	;; [unrolled: 4-line block ×4, first 2 shown]
	v_add_f32_e32 v55, v55, v58
	v_mul_f32_e32 v58, 0x3f0a6770, v99
	v_fma_f32 v63, v57, s4, -v58
	v_add_f32_e32 v53, v63, v53
	v_mul_f32_e32 v63, 0x3f0a6770, v98
	v_mov_b32_e32 v89, v63
	v_fmac_f32_e32 v89, 0x3f575c64, v59
	v_add_f32_e32 v52, v89, v52
	v_mul_f32_e32 v89, 0xbf4178ce, v97
	v_fma_f32 v97, v100, s15, -v89
	v_mul_f32_e32 v96, 0xbf4178ce, v96
	v_add_f32_e32 v53, v97, v53
	v_mov_b32_e32 v97, v96
	v_fmac_f32_e32 v97, 0xbf27a4f4, v101
	v_add_f32_e32 v52, v97, v52
	v_mul_f32_e32 v97, 0x3f68dda4, v108
	v_fma_f32 v98, v103, s5, -v97
	v_mul_f32_e32 v62, 0x3f68dda4, v62
	v_add_f32_e32 v53, v98, v53
	v_mov_b32_e32 v98, v62
	v_fmac_f32_e32 v98, 0x3ed4b147, v106
	v_mul_f32_e32 v99, 0xbf7d64f0, v112
	v_add_f32_e32 v98, v98, v52
	v_fma_f32 v52, v109, s14, -v99
	v_mul_f32_e32 v102, 0xbf7d64f0, v110
	v_fmac_f32_e32 v58, 0x3f575c64, v57
	v_fma_f32 v57, v59, s4, -v63
	v_add_f32_e32 v52, v52, v53
	v_mov_b32_e32 v53, v102
	v_add_f32_e32 v50, v58, v50
	v_add_f32_e32 v51, v57, v51
	v_fmac_f32_e32 v89, 0xbf27a4f4, v100
	v_fma_f32 v57, v101, s15, -v96
	v_fmac_f32_e32 v53, 0xbe11bafb, v111
	v_add_f32_e32 v50, v89, v50
	v_add_f32_e32 v51, v57, v51
	v_fmac_f32_e32 v97, 0x3ed4b147, v103
	v_fma_f32 v57, v106, s5, -v62
	v_add_f32_e32 v53, v53, v98
	v_add_f32_e32 v50, v97, v50
	;; [unrolled: 1-line block ×3, first 2 shown]
	v_fmac_f32_e32 v99, 0xbe11bafb, v109
	v_fma_f32 v57, v111, s14, -v102
	v_add_f32_e32 v50, v99, v50
	v_add_f32_e32 v51, v57, v51
	ds_write2_b64 v83, v[48:49], v[90:91] offset1:44
	ds_write2_b64 v83, v[92:93], v[94:95] offset0:88 offset1:132
	ds_write2_b64 v83, v[60:61], v[52:53] offset0:176 offset1:220
	ds_write2_b64 v56, v[50:51], v[54:55] offset0:8 offset1:52
	ds_write2_b64 v56, v[44:45], v[46:47] offset0:96 offset1:140
	ds_write_b64 v83, v[0:1] offset:3520
	s_waitcnt lgkmcnt(0)
	; wave barrier
	s_waitcnt lgkmcnt(0)
	global_load_dwordx2 v[52:53], v[64:65], off offset:3872
	global_load_dwordx2 v[57:58], v83, s[2:3] offset:352
	global_load_dwordx2 v[59:60], v83, s[2:3] offset:968
	;; [unrolled: 1-line block ×7, first 2 shown]
	ds_read2_b64 v[48:51], v83 offset1:44
	s_waitcnt vmcnt(6) lgkmcnt(0)
	v_mul_f32_e32 v98, v50, v58
	v_fmac_f32_e32 v98, v51, v57
	v_mul_f32_e32 v54, v49, v53
	v_mul_f32_e32 v55, v48, v53
	v_fma_f32 v54, v48, v52, -v54
	v_fmac_f32_e32 v55, v49, v52
	ds_write_b64 v83, v[54:55]
	ds_read2_b64 v[52:55], v83 offset0:121 offset1:165
	v_mul_f32_e32 v48, v51, v58
	v_fma_f32 v97, v50, v57, -v48
	v_add_u32_e32 v57, 0x400, v83
	s_waitcnt vmcnt(5) lgkmcnt(0)
	v_mul_f32_e32 v48, v53, v60
	v_mul_f32_e32 v100, v52, v60
	v_fma_f32 v99, v52, v59, -v48
	v_fmac_f32_e32 v100, v53, v59
	ds_read2_b64 v[48:51], v57 offset0:114 offset1:158
	s_waitcnt vmcnt(4)
	v_mul_f32_e32 v52, v55, v62
	v_mul_f32_e32 v59, v54, v62
	v_fma_f32 v58, v54, v61, -v52
	v_fmac_f32_e32 v59, v55, v61
	ds_read2_b64 v[52:55], v56 offset0:107 offset1:151
	s_waitcnt vmcnt(3) lgkmcnt(1)
	v_mul_f32_e32 v60, v49, v90
	v_mul_f32_e32 v61, v48, v90
	v_fma_f32 v60, v48, v89, -v60
	v_fmac_f32_e32 v61, v49, v89
	s_waitcnt vmcnt(2) lgkmcnt(0)
	v_mul_f32_e32 v48, v53, v92
	v_mul_f32_e32 v49, v52, v92
	v_fma_f32 v48, v52, v91, -v48
	v_fmac_f32_e32 v49, v53, v91
	s_waitcnt vmcnt(0)
	v_mul_f32_e32 v52, v51, v96
	v_mul_f32_e32 v53, v50, v96
	v_fma_f32 v52, v50, v95, -v52
	v_fmac_f32_e32 v53, v51, v95
	ds_write2_b64 v56, v[52:53], v[48:49] offset0:30 offset1:107
	v_mul_f32_e32 v48, v55, v94
	v_mul_f32_e32 v49, v54, v94
	v_fma_f32 v48, v54, v93, -v48
	v_fmac_f32_e32 v49, v55, v93
	ds_write2_b64 v83, v[97:98], v[99:100] offset0:44 offset1:121
	ds_write2_b64 v83, v[58:59], v[60:61] offset0:165 offset1:242
	ds_write_b64 v83, v[48:49] offset:3256
	s_and_saveexec_b64 s[4:5], s[0:1]
	s_cbranch_execz .LBB0_9
; %bb.8:
	v_mov_b32_e32 v49, s3
	v_add_co_u32_e32 v48, vcc, s2, v83
	v_addc_co_u32_e32 v49, vcc, 0, v49, vcc
	global_load_dwordx2 v[58:59], v[48:49], off offset:704
	global_load_dwordx2 v[60:61], v[48:49], off offset:1672
	;; [unrolled: 1-line block ×4, first 2 shown]
	ds_read2_b64 v[48:51], v83 offset0:88 offset1:209
	ds_read2_b64 v[52:55], v56 offset0:74 offset1:195
	s_waitcnt vmcnt(3) lgkmcnt(1)
	v_mul_f32_e32 v92, v49, v59
	v_mul_f32_e32 v91, v48, v59
	s_waitcnt vmcnt(2)
	v_mul_f32_e32 v93, v51, v61
	v_mul_f32_e32 v59, v50, v61
	s_waitcnt vmcnt(1) lgkmcnt(0)
	v_mul_f32_e32 v94, v53, v63
	v_mul_f32_e32 v61, v52, v63
	s_waitcnt vmcnt(0)
	v_mul_f32_e32 v95, v55, v90
	v_mul_f32_e32 v63, v54, v90
	v_fma_f32 v90, v48, v58, -v92
	v_fmac_f32_e32 v91, v49, v58
	v_fma_f32 v58, v50, v60, -v93
	v_fmac_f32_e32 v59, v51, v60
	;; [unrolled: 2-line block ×4, first 2 shown]
	ds_write2_b64 v83, v[90:91], v[58:59] offset0:88 offset1:209
	ds_write2_b64 v56, v[60:61], v[62:63] offset0:74 offset1:195
.LBB0_9:
	s_or_b64 exec, exec, s[4:5]
	s_waitcnt lgkmcnt(0)
	; wave barrier
	s_waitcnt lgkmcnt(0)
	ds_read2_b64 v[52:55], v83 offset1:44
	ds_read2_b64 v[48:51], v83 offset0:121 offset1:165
	ds_read2_b64 v[60:63], v57 offset0:114 offset1:158
	;; [unrolled: 1-line block ×3, first 2 shown]
	v_add_u32_e32 v87, 0x580, v87
	s_and_saveexec_b64 s[2:3], s[0:1]
	s_cbranch_execz .LBB0_11
; %bb.10:
	v_add_u32_e32 v0, 0x800, v83
	ds_read2_b64 v[44:47], v83 offset0:88 offset1:209
	ds_read2_b64 v[0:3], v0 offset0:74 offset1:195
.LBB0_11:
	s_or_b64 exec, exec, s[2:3]
	s_waitcnt lgkmcnt(1)
	v_sub_f32_e32 v60, v52, v60
	v_sub_f32_e32 v61, v53, v61
	s_waitcnt lgkmcnt(0)
	v_sub_f32_e32 v56, v48, v56
	v_sub_f32_e32 v57, v49, v57
	v_fma_f32 v52, v52, 2.0, -v60
	v_fma_f32 v53, v53, 2.0, -v61
	;; [unrolled: 1-line block ×4, first 2 shown]
	v_sub_f32_e32 v89, v52, v48
	v_sub_f32_e32 v90, v53, v49
	v_add_f32_e32 v91, v60, v57
	v_sub_f32_e32 v92, v61, v56
	v_sub_f32_e32 v56, v54, v62
	;; [unrolled: 1-line block ×3, first 2 shown]
	v_fma_f32 v93, v52, 2.0, -v89
	v_fma_f32 v94, v53, 2.0, -v90
	v_fma_f32 v52, v54, 2.0, -v56
	v_fma_f32 v53, v55, 2.0, -v57
	v_sub_f32_e32 v54, v50, v58
	v_sub_f32_e32 v55, v51, v59
	v_fma_f32 v48, v50, 2.0, -v54
	v_fma_f32 v49, v51, 2.0, -v55
	;; [unrolled: 1-line block ×4, first 2 shown]
	v_sub_f32_e32 v48, v52, v48
	v_sub_f32_e32 v49, v53, v49
	v_add_f32_e32 v50, v56, v55
	v_sub_f32_e32 v51, v57, v54
	v_fma_f32 v52, v52, 2.0, -v48
	v_fma_f32 v53, v53, 2.0, -v49
	;; [unrolled: 1-line block ×4, first 2 shown]
	s_waitcnt lgkmcnt(0)
	; wave barrier
	ds_write_b128 v86, v[93:96]
	ds_write_b128 v86, v[89:92] offset:16
	ds_write_b128 v87, v[52:55]
	ds_write_b128 v87, v[48:51] offset:16
	s_and_saveexec_b64 s[2:3], s[0:1]
	s_cbranch_execz .LBB0_13
; %bb.12:
	v_sub_f32_e32 v1, v45, v1
	v_sub_f32_e32 v2, v46, v2
	;; [unrolled: 1-line block ×5, first 2 shown]
	v_fma_f32 v53, v1, 2.0, -v49
	v_add_f32_e32 v48, v3, v0
	v_fma_f32 v1, v45, 2.0, -v1
	v_fma_f32 v3, v47, 2.0, -v3
	v_sub_f32_e32 v47, v1, v3
	v_fma_f32 v52, v0, 2.0, -v48
	v_fma_f32 v51, v1, 2.0, -v47
	;; [unrolled: 1-line block ×4, first 2 shown]
	v_sub_f32_e32 v46, v0, v1
	v_fma_f32 v50, v0, 2.0, -v46
	ds_write_b128 v85, v[50:53]
	ds_write_b128 v85, v[46:49] offset:16
.LBB0_13:
	s_or_b64 exec, exec, s[2:3]
	s_waitcnt lgkmcnt(0)
	; wave barrier
	s_waitcnt lgkmcnt(0)
	ds_read2_b64 v[44:47], v83 offset1:44
	ds_read2_b64 v[48:51], v83 offset0:88 offset1:132
	ds_read2_b64 v[52:55], v83 offset0:176 offset1:220
	v_add_u32_e32 v2, 0x800, v83
	ds_read2_b64 v[56:59], v2 offset0:8 offset1:52
	ds_read2_b64 v[60:63], v2 offset0:96 offset1:140
	ds_read_b64 v[85:86], v83 offset:3520
	s_waitcnt lgkmcnt(5)
	v_mul_f32_e32 v87, v17, v47
	v_mul_f32_e32 v3, v17, v46
	v_fmac_f32_e32 v87, v16, v46
	v_fma_f32 v16, v16, v47, -v3
	s_waitcnt lgkmcnt(4)
	v_mul_f32_e32 v17, v19, v49
	v_mul_f32_e32 v3, v19, v48
	v_fmac_f32_e32 v17, v18, v48
	v_fma_f32 v18, v18, v49, -v3
	v_mul_f32_e32 v19, v13, v51
	v_mul_f32_e32 v3, v13, v50
	v_fmac_f32_e32 v19, v12, v50
	v_fma_f32 v12, v12, v51, -v3
	s_waitcnt lgkmcnt(3)
	v_mul_f32_e32 v13, v15, v53
	v_mul_f32_e32 v3, v15, v52
	v_fmac_f32_e32 v13, v14, v52
	v_fma_f32 v14, v14, v53, -v3
	;; [unrolled: 9-line block ×3, first 2 shown]
	v_mul_f32_e32 v3, v5, v58
	v_mul_f32_e32 v11, v5, v59
	v_fma_f32 v5, v4, v59, -v3
	s_waitcnt lgkmcnt(1)
	v_mul_f32_e32 v46, v7, v61
	v_mul_f32_e32 v3, v7, v60
	v_fmac_f32_e32 v11, v4, v58
	v_fmac_f32_e32 v46, v6, v60
	v_fma_f32 v6, v6, v61, -v3
	v_mul_f32_e32 v7, v21, v63
	v_mul_f32_e32 v3, v21, v62
	v_add_f32_e32 v4, v45, v16
	v_fmac_f32_e32 v7, v20, v62
	v_fma_f32 v20, v20, v63, -v3
	s_waitcnt lgkmcnt(0)
	v_mul_f32_e32 v21, v23, v86
	v_mul_f32_e32 v3, v23, v85
	v_add_f32_e32 v4, v4, v18
	v_fmac_f32_e32 v21, v22, v85
	v_fma_f32 v22, v22, v86, -v3
	v_add_f32_e32 v3, v44, v87
	v_add_f32_e32 v4, v4, v12
	;; [unrolled: 1-line block ×15, first 2 shown]
	v_sub_f32_e32 v16, v16, v22
	v_mad_u64_u32 v[0:1], s[2:3], s10, v76, 0
	v_add_f32_e32 v3, v3, v46
	v_add_f32_e32 v4, v4, v22
	v_mul_f32_e32 v22, 0xbf0a6770, v16
	v_mul_f32_e32 v51, 0xbf68dda4, v16
	;; [unrolled: 1-line block ×5, first 2 shown]
	v_add_f32_e32 v3, v3, v7
	v_add_f32_e32 v23, v87, v21
	s_mov_b32 s4, 0x3f575c64
	v_mov_b32_e32 v48, v22
	v_mul_f32_e32 v49, 0x3f575c64, v47
	s_mov_b32 s2, 0x3ed4b147
	v_mov_b32_e32 v52, v51
	v_mul_f32_e32 v53, 0x3ed4b147, v47
	s_mov_b32 s3, 0xbe11bafb
	v_mov_b32_e32 v56, v55
	v_mul_f32_e32 v57, 0xbe11bafb, v47
	s_mov_b32 s5, 0xbf27a4f4
	v_mov_b32_e32 v60, v59
	v_mul_f32_e32 v61, 0xbf27a4f4, v47
	s_mov_b32 s10, 0xbf75a155
	v_mov_b32_e32 v63, v16
	v_mul_f32_e32 v47, 0xbf75a155, v47
	v_add_f32_e32 v3, v3, v21
	v_sub_f32_e32 v21, v87, v21
	v_fmac_f32_e32 v48, 0x3f575c64, v23
	v_mov_b32_e32 v50, v49
	v_fma_f32 v22, v23, s4, -v22
	v_fmac_f32_e32 v52, 0x3ed4b147, v23
	v_mov_b32_e32 v54, v53
	v_fma_f32 v51, v23, s2, -v51
	;; [unrolled: 3-line block ×5, first 2 shown]
	v_add_f32_e32 v48, v44, v48
	v_fmac_f32_e32 v50, 0x3f0a6770, v21
	v_add_f32_e32 v22, v44, v22
	v_fmac_f32_e32 v49, 0xbf0a6770, v21
	;; [unrolled: 2-line block ×10, first 2 shown]
	v_add_f32_e32 v23, v17, v7
	v_add_f32_e32 v44, v18, v20
	v_sub_f32_e32 v7, v17, v7
	v_sub_f32_e32 v17, v18, v20
	v_add_f32_e32 v50, v45, v50
	v_add_f32_e32 v49, v45, v49
	;; [unrolled: 1-line block ×10, first 2 shown]
	v_mul_f32_e32 v18, 0xbf68dda4, v17
	v_mul_f32_e32 v45, 0x3ed4b147, v44
	v_mov_b32_e32 v20, v18
	v_mov_b32_e32 v47, v45
	v_fma_f32 v18, v23, s2, -v18
	v_fmac_f32_e32 v45, 0xbf68dda4, v7
	v_fmac_f32_e32 v20, 0x3ed4b147, v23
	v_add_f32_e32 v18, v18, v22
	v_add_f32_e32 v22, v45, v49
	v_mul_f32_e32 v45, 0xbf4178ce, v17
	v_add_f32_e32 v20, v20, v48
	v_mov_b32_e32 v48, v45
	v_fma_f32 v45, v23, s5, -v45
	v_fmac_f32_e32 v47, 0x3f68dda4, v7
	v_fmac_f32_e32 v48, 0xbf27a4f4, v23
	v_mul_f32_e32 v49, 0xbf27a4f4, v44
	v_add_f32_e32 v45, v45, v51
	v_mul_f32_e32 v51, 0x3e903f40, v17
	v_add_f32_e32 v47, v47, v50
	v_add_f32_e32 v48, v48, v52
	v_mov_b32_e32 v50, v49
	v_fmac_f32_e32 v49, 0xbf4178ce, v7
	v_mov_b32_e32 v52, v51
	v_fma_f32 v51, v23, s10, -v51
	v_fmac_f32_e32 v50, 0x3f4178ce, v7
	v_add_f32_e32 v49, v49, v53
	v_fmac_f32_e32 v52, 0xbf75a155, v23
	v_mul_f32_e32 v53, 0xbf75a155, v44
	v_add_f32_e32 v51, v51, v55
	v_mul_f32_e32 v55, 0x3f7d64f0, v17
	v_add_f32_e32 v50, v50, v54
	v_add_f32_e32 v52, v52, v56
	v_mov_b32_e32 v54, v53
	v_fmac_f32_e32 v53, 0x3e903f40, v7
	v_mov_b32_e32 v56, v55
	v_fmac_f32_e32 v54, 0xbe903f40, v7
	v_add_f32_e32 v53, v53, v57
	v_fmac_f32_e32 v56, 0xbe11bafb, v23
	v_mul_f32_e32 v57, 0xbe11bafb, v44
	v_mul_f32_e32 v44, 0x3f575c64, v44
	v_add_f32_e32 v54, v54, v58
	v_add_f32_e32 v56, v56, v60
	v_mov_b32_e32 v58, v57
	v_mov_b32_e32 v60, v44
	v_fmac_f32_e32 v44, 0x3f0a6770, v7
	v_fmac_f32_e32 v58, 0xbf7d64f0, v7
	v_fma_f32 v55, v23, s3, -v55
	v_fmac_f32_e32 v57, 0x3f7d64f0, v7
	v_mul_f32_e32 v17, 0x3f0a6770, v17
	v_fmac_f32_e32 v60, 0xbf0a6770, v7
	v_add_f32_e32 v7, v44, v21
	v_add_f32_e32 v21, v12, v6
	v_sub_f32_e32 v6, v12, v6
	v_add_f32_e32 v55, v55, v59
	v_mov_b32_e32 v59, v17
	v_fma_f32 v17, v23, s4, -v17
	v_mul_f32_e32 v12, 0xbf7d64f0, v6
	v_fmac_f32_e32 v59, 0x3f575c64, v23
	v_add_f32_e32 v16, v17, v16
	v_add_f32_e32 v17, v19, v46
	v_mov_b32_e32 v23, v12
	v_fmac_f32_e32 v23, 0xbe11bafb, v17
	v_sub_f32_e32 v19, v19, v46
	v_add_f32_e32 v20, v23, v20
	v_mul_f32_e32 v23, 0xbe11bafb, v21
	v_mov_b32_e32 v44, v23
	v_fma_f32 v12, v17, s3, -v12
	v_fmac_f32_e32 v23, 0xbf7d64f0, v19
	v_fmac_f32_e32 v44, 0x3f7d64f0, v19
	v_add_f32_e32 v12, v12, v18
	v_add_f32_e32 v18, v23, v22
	v_mul_f32_e32 v22, 0x3e903f40, v6
	v_mul_f32_e32 v46, 0xbf75a155, v21
	v_add_f32_e32 v44, v44, v47
	v_mov_b32_e32 v23, v22
	v_mov_b32_e32 v47, v46
	v_fma_f32 v22, v17, s10, -v22
	v_fmac_f32_e32 v46, 0x3e903f40, v19
	v_fmac_f32_e32 v23, 0xbf75a155, v17
	v_add_f32_e32 v22, v22, v45
	v_add_f32_e32 v45, v46, v49
	v_mul_f32_e32 v46, 0x3f68dda4, v6
	v_add_f32_e32 v23, v23, v48
	v_mov_b32_e32 v48, v46
	v_fma_f32 v46, v17, s2, -v46
	v_fmac_f32_e32 v48, 0x3ed4b147, v17
	v_add_f32_e32 v46, v46, v51
	v_mul_f32_e32 v51, 0xbf0a6770, v6
	v_add_f32_e32 v48, v48, v52
	v_mov_b32_e32 v52, v51
	v_fma_f32 v51, v17, s4, -v51
	v_mul_f32_e32 v6, 0xbf4178ce, v6
	v_fmac_f32_e32 v47, 0xbe903f40, v19
	v_mul_f32_e32 v49, 0x3ed4b147, v21
	v_add_f32_e32 v51, v51, v55
	v_mov_b32_e32 v55, v6
	v_add_f32_e32 v47, v47, v50
	v_mov_b32_e32 v50, v49
	v_fmac_f32_e32 v49, 0x3f68dda4, v19
	v_fmac_f32_e32 v52, 0x3f575c64, v17
	;; [unrolled: 1-line block ×3, first 2 shown]
	v_fma_f32 v6, v17, s5, -v6
	v_add_f32_e32 v17, v14, v5
	v_sub_f32_e32 v5, v14, v5
	v_fmac_f32_e32 v50, 0xbf68dda4, v19
	v_add_f32_e32 v49, v49, v53
	v_mul_f32_e32 v53, 0x3f575c64, v21
	v_mul_f32_e32 v21, 0xbf27a4f4, v21
	v_add_f32_e32 v6, v6, v16
	v_add_f32_e32 v16, v13, v11
	v_sub_f32_e32 v11, v13, v11
	v_mul_f32_e32 v13, 0xbf4178ce, v5
	v_add_f32_e32 v50, v50, v54
	v_add_f32_e32 v52, v52, v56
	v_mov_b32_e32 v54, v53
	v_mov_b32_e32 v56, v21
	;; [unrolled: 1-line block ×3, first 2 shown]
	v_fmac_f32_e32 v54, 0x3f0a6770, v19
	v_fmac_f32_e32 v53, 0xbf0a6770, v19
	;; [unrolled: 1-line block ×5, first 2 shown]
	v_mul_f32_e32 v19, 0xbf27a4f4, v17
	v_add_f32_e32 v14, v14, v20
	v_mov_b32_e32 v20, v19
	v_fma_f32 v13, v16, s5, -v13
	v_fmac_f32_e32 v19, 0xbf4178ce, v11
	v_add_f32_e32 v12, v13, v12
	v_add_f32_e32 v13, v19, v18
	v_mul_f32_e32 v18, 0x3f7d64f0, v5
	v_mov_b32_e32 v19, v18
	v_add_f32_e32 v7, v21, v7
	v_fmac_f32_e32 v19, 0xbe11bafb, v16
	v_mul_f32_e32 v21, 0xbe11bafb, v17
	v_fma_f32 v18, v16, s3, -v18
	v_fmac_f32_e32 v20, 0x3f4178ce, v11
	v_add_f32_e32 v19, v19, v23
	v_mov_b32_e32 v23, v21
	v_add_f32_e32 v18, v18, v22
	v_fmac_f32_e32 v21, 0x3f7d64f0, v11
	v_mul_f32_e32 v22, 0xbf0a6770, v5
	v_add_f32_e32 v20, v20, v44
	v_fmac_f32_e32 v23, 0xbf7d64f0, v11
	v_add_f32_e32 v21, v21, v45
	v_mov_b32_e32 v44, v22
	v_mul_f32_e32 v45, 0x3f575c64, v17
	v_fma_f32 v22, v16, s4, -v22
	v_add_f32_e32 v23, v23, v47
	v_fmac_f32_e32 v44, 0x3f575c64, v16
	v_mov_b32_e32 v47, v45
	v_add_f32_e32 v22, v22, v46
	v_fmac_f32_e32 v45, 0xbf0a6770, v11
	v_mul_f32_e32 v46, 0xbe903f40, v5
	v_add_f32_e32 v44, v44, v48
	v_fmac_f32_e32 v47, 0x3f0a6770, v11
	v_add_f32_e32 v45, v45, v49
	v_mov_b32_e32 v48, v46
	v_mul_f32_e32 v49, 0xbf75a155, v17
	v_fma_f32 v46, v16, s10, -v46
	v_mul_f32_e32 v5, 0x3f68dda4, v5
	v_add_f32_e32 v58, v58, v62
	v_add_f32_e32 v59, v59, v63
	;; [unrolled: 1-line block ×3, first 2 shown]
	v_fmac_f32_e32 v48, 0xbf75a155, v16
	v_mov_b32_e32 v50, v49
	v_add_f32_e32 v46, v46, v51
	v_mov_b32_e32 v51, v5
	v_mul_f32_e32 v17, 0x3ed4b147, v17
	v_add_f32_e32 v57, v57, v61
	v_add_f32_e32 v60, v60, v85
	;; [unrolled: 1-line block ×5, first 2 shown]
	v_fmac_f32_e32 v50, 0x3e903f40, v11
	v_fmac_f32_e32 v51, 0x3ed4b147, v16
	v_mov_b32_e32 v52, v17
	v_fmac_f32_e32 v17, 0x3f68dda4, v11
	v_sub_f32_e32 v58, v8, v10
	v_add_f32_e32 v53, v53, v57
	v_add_f32_e32 v56, v56, v60
	;; [unrolled: 1-line block ×3, first 2 shown]
	v_fmac_f32_e32 v49, 0xbe903f40, v11
	v_add_f32_e32 v51, v51, v55
	v_fmac_f32_e32 v52, 0xbf68dda4, v11
	v_fma_f32 v5, v16, s2, -v5
	v_add_f32_e32 v54, v17, v7
	v_add_f32_e32 v55, v15, v9
	v_mul_f32_e32 v7, 0xbe903f40, v58
	v_add_f32_e32 v49, v49, v53
	v_add_f32_e32 v52, v52, v56
	;; [unrolled: 1-line block ×4, first 2 shown]
	v_mov_b32_e32 v5, v7
	v_fma_f32 v7, v55, s10, -v7
	v_mul_f32_e32 v8, 0xbf75a155, v56
	v_add_f32_e32 v7, v7, v12
	v_mul_f32_e32 v11, 0x3f0a6770, v58
	v_mul_f32_e32 v12, 0x3f575c64, v56
	v_sub_f32_e32 v57, v15, v9
	v_fmac_f32_e32 v5, 0xbf75a155, v55
	v_mov_b32_e32 v6, v8
	v_mov_b32_e32 v9, v11
	;; [unrolled: 1-line block ×3, first 2 shown]
	v_mul_f32_e32 v16, 0xbf27a4f4, v56
	v_add_f32_e32 v5, v5, v14
	v_fmac_f32_e32 v6, 0x3e903f40, v57
	v_fmac_f32_e32 v8, 0xbe903f40, v57
	;; [unrolled: 1-line block ×4, first 2 shown]
	v_mul_f32_e32 v15, 0xbf4178ce, v58
	v_mov_b32_e32 v14, v16
	v_fmac_f32_e32 v16, 0xbf4178ce, v57
	v_add_f32_e32 v6, v6, v20
	v_add_f32_e32 v8, v8, v13
	;; [unrolled: 1-line block ×4, first 2 shown]
	v_fma_f32 v11, v55, s4, -v11
	v_fmac_f32_e32 v12, 0x3f0a6770, v57
	v_mov_b32_e32 v13, v15
	v_fma_f32 v15, v55, s5, -v15
	v_add_f32_e32 v16, v16, v45
	v_mul_f32_e32 v19, 0x3f68dda4, v58
	v_mul_f32_e32 v20, 0x3ed4b147, v56
	;; [unrolled: 1-line block ×4, first 2 shown]
	v_add_f32_e32 v11, v11, v18
	v_add_f32_e32 v12, v12, v21
	;; [unrolled: 1-line block ×3, first 2 shown]
	v_mov_b32_e32 v17, v19
	v_mov_b32_e32 v18, v20
	;; [unrolled: 1-line block ×4, first 2 shown]
	v_fmac_f32_e32 v13, 0xbf27a4f4, v55
	v_fmac_f32_e32 v14, 0x3f4178ce, v57
	;; [unrolled: 1-line block ×4, first 2 shown]
	v_fma_f32 v19, v55, s2, -v19
	v_fmac_f32_e32 v20, 0x3f68dda4, v57
	v_fmac_f32_e32 v21, 0xbe11bafb, v55
	;; [unrolled: 1-line block ×3, first 2 shown]
	v_fma_f32 v23, v55, s3, -v23
	v_fmac_f32_e32 v45, 0xbf7d64f0, v57
	v_add_f32_e32 v13, v13, v44
	v_add_f32_e32 v14, v14, v47
	;; [unrolled: 1-line block ×10, first 2 shown]
	s_waitcnt lgkmcnt(0)
	; wave barrier
	ds_write2_b64 v88, v[3:4], v[5:6] offset1:4
	ds_write2_b64 v88, v[9:10], v[13:14] offset0:8 offset1:12
	ds_write2_b64 v88, v[17:18], v[21:22] offset0:16 offset1:20
	;; [unrolled: 1-line block ×4, first 2 shown]
	ds_write_b64 v88, v[7:8] offset:320
	s_waitcnt lgkmcnt(0)
	; wave barrier
	s_waitcnt lgkmcnt(0)
	ds_read2_b64 v[3:6], v83 offset1:44
	ds_read2_b64 v[7:10], v83 offset0:88 offset1:132
	ds_read2_b64 v[11:14], v83 offset0:176 offset1:220
	;; [unrolled: 1-line block ×4, first 2 shown]
	ds_read_b64 v[44:45], v83 offset:3520
	s_waitcnt lgkmcnt(5)
	v_mul_f32_e32 v23, v37, v6
	v_fmac_f32_e32 v23, v36, v5
	v_mul_f32_e32 v5, v37, v5
	v_fma_f32 v36, v36, v6, -v5
	s_waitcnt lgkmcnt(4)
	v_mul_f32_e32 v37, v39, v8
	v_mul_f32_e32 v5, v39, v7
	v_fmac_f32_e32 v37, v38, v7
	v_fma_f32 v7, v38, v8, -v5
	v_mul_f32_e32 v8, v33, v10
	v_mul_f32_e32 v5, v33, v9
	v_fmac_f32_e32 v8, v32, v9
	v_fma_f32 v9, v32, v10, -v5
	s_waitcnt lgkmcnt(3)
	v_mul_f32_e32 v10, v35, v12
	v_mul_f32_e32 v5, v35, v11
	v_fmac_f32_e32 v10, v34, v11
	v_fma_f32 v11, v34, v12, -v5
	v_mul_f32_e32 v12, v29, v14
	v_mul_f32_e32 v5, v29, v13
	v_fmac_f32_e32 v12, v28, v13
	;; [unrolled: 9-line block ×4, first 2 shown]
	v_fma_f32 v21, v40, v22, -v5
	s_waitcnt lgkmcnt(0)
	v_mul_f32_e32 v5, v43, v44
	v_fma_f32 v24, v42, v45, -v5
	v_add_f32_e32 v5, v3, v23
	v_add_f32_e32 v6, v4, v36
	;; [unrolled: 1-line block ×13, first 2 shown]
	v_mul_f32_e32 v22, v43, v45
	v_add_f32_e32 v6, v6, v17
	v_add_f32_e32 v5, v5, v18
	v_fmac_f32_e32 v22, v42, v44
	v_add_f32_e32 v6, v6, v19
	v_add_f32_e32 v5, v5, v20
	;; [unrolled: 1-line block ×5, first 2 shown]
	v_sub_f32_e32 v22, v23, v22
	v_sub_f32_e32 v23, v36, v24
	v_add_f32_e32 v6, v6, v24
	v_add_f32_e32 v26, v36, v24
	v_mul_f32_e32 v24, 0xbf0a6770, v23
	v_mul_f32_e32 v30, 0xbf68dda4, v23
	;; [unrolled: 1-line block ×5, first 2 shown]
	v_mov_b32_e32 v27, v24
	v_mov_b32_e32 v31, v30
	;; [unrolled: 1-line block ×5, first 2 shown]
	v_fmac_f32_e32 v27, 0x3f575c64, v25
	v_fma_f32 v24, v25, s4, -v24
	v_fmac_f32_e32 v31, 0x3ed4b147, v25
	v_fma_f32 v30, v25, s2, -v30
	;; [unrolled: 2-line block ×5, first 2 shown]
	v_add_f32_e32 v27, v3, v27
	v_mul_f32_e32 v28, 0x3f575c64, v26
	v_add_f32_e32 v24, v3, v24
	v_add_f32_e32 v31, v3, v31
	v_mul_f32_e32 v32, 0x3ed4b147, v26
	v_add_f32_e32 v30, v3, v30
	;; [unrolled: 3-line block ×5, first 2 shown]
	v_add_f32_e32 v23, v7, v21
	v_sub_f32_e32 v7, v7, v21
	v_mov_b32_e32 v29, v28
	v_mov_b32_e32 v33, v32
	;; [unrolled: 1-line block ×5, first 2 shown]
	v_mul_f32_e32 v21, 0xbf68dda4, v7
	v_fmac_f32_e32 v29, 0x3f0a6770, v22
	v_fmac_f32_e32 v28, 0xbf0a6770, v22
	;; [unrolled: 1-line block ×10, first 2 shown]
	v_add_f32_e32 v22, v37, v20
	v_mov_b32_e32 v25, v21
	v_add_f32_e32 v29, v4, v29
	v_add_f32_e32 v28, v4, v28
	;; [unrolled: 1-line block ×10, first 2 shown]
	v_sub_f32_e32 v20, v37, v20
	v_fmac_f32_e32 v25, 0x3ed4b147, v22
	v_mul_f32_e32 v26, 0x3ed4b147, v23
	v_add_f32_e32 v25, v25, v27
	v_mov_b32_e32 v27, v26
	v_fma_f32 v21, v22, s2, -v21
	v_fmac_f32_e32 v26, 0xbf68dda4, v20
	v_add_f32_e32 v21, v21, v24
	v_add_f32_e32 v24, v26, v28
	v_mul_f32_e32 v26, 0xbf4178ce, v7
	v_fmac_f32_e32 v27, 0x3f68dda4, v20
	v_mov_b32_e32 v28, v26
	v_add_f32_e32 v27, v27, v29
	v_fmac_f32_e32 v28, 0xbf27a4f4, v22
	v_mul_f32_e32 v29, 0xbf27a4f4, v23
	v_fma_f32 v26, v22, s5, -v26
	v_add_f32_e32 v28, v28, v31
	v_mov_b32_e32 v31, v29
	v_add_f32_e32 v26, v26, v30
	v_fmac_f32_e32 v29, 0xbf4178ce, v20
	v_mul_f32_e32 v30, 0x3e903f40, v7
	v_fmac_f32_e32 v31, 0x3f4178ce, v20
	v_add_f32_e32 v29, v29, v32
	v_mov_b32_e32 v32, v30
	v_add_f32_e32 v31, v31, v33
	v_fmac_f32_e32 v32, 0xbf75a155, v22
	v_mul_f32_e32 v33, 0xbf75a155, v23
	v_fma_f32 v30, v22, s10, -v30
	v_add_f32_e32 v32, v32, v35
	v_mov_b32_e32 v35, v33
	v_add_f32_e32 v30, v30, v34
	v_fmac_f32_e32 v33, 0x3e903f40, v20
	v_mul_f32_e32 v34, 0x3f7d64f0, v7
	v_add_f32_e32 v33, v33, v36
	v_mov_b32_e32 v36, v34
	v_fmac_f32_e32 v35, 0xbe903f40, v20
	v_fmac_f32_e32 v36, 0xbe11bafb, v22
	v_mul_f32_e32 v37, 0xbe11bafb, v23
	v_mul_f32_e32 v23, 0x3f575c64, v23
	v_add_f32_e32 v35, v35, v38
	v_add_f32_e32 v36, v36, v40
	v_mov_b32_e32 v38, v37
	v_fma_f32 v34, v22, s3, -v34
	v_mul_f32_e32 v7, 0x3f0a6770, v7
	v_mov_b32_e32 v40, v23
	v_fmac_f32_e32 v38, 0xbf7d64f0, v20
	v_add_f32_e32 v34, v34, v39
	v_fmac_f32_e32 v37, 0x3f7d64f0, v20
	v_mov_b32_e32 v39, v7
	v_fmac_f32_e32 v40, 0xbf0a6770, v20
	v_fma_f32 v7, v22, s4, -v7
	v_fmac_f32_e32 v23, 0x3f0a6770, v20
	v_add_f32_e32 v20, v9, v19
	v_sub_f32_e32 v9, v9, v19
	v_fmac_f32_e32 v39, 0x3f575c64, v22
	v_add_f32_e32 v3, v7, v3
	v_add_f32_e32 v7, v8, v18
	v_sub_f32_e32 v8, v8, v18
	v_mul_f32_e32 v18, 0xbf7d64f0, v9
	v_mul_f32_e32 v22, 0xbe11bafb, v20
	v_add_f32_e32 v4, v23, v4
	v_mov_b32_e32 v19, v18
	v_mov_b32_e32 v23, v22
	v_fma_f32 v18, v7, s3, -v18
	v_fmac_f32_e32 v22, 0xbf7d64f0, v8
	v_add_f32_e32 v18, v18, v21
	v_add_f32_e32 v21, v22, v24
	v_mul_f32_e32 v22, 0x3e903f40, v9
	v_mov_b32_e32 v24, v22
	v_fma_f32 v22, v7, s10, -v22
	v_fmac_f32_e32 v19, 0xbe11bafb, v7
	v_fmac_f32_e32 v24, 0xbf75a155, v7
	v_add_f32_e32 v22, v22, v26
	v_mul_f32_e32 v26, 0x3f68dda4, v9
	v_add_f32_e32 v19, v19, v25
	v_fmac_f32_e32 v23, 0x3f7d64f0, v8
	v_add_f32_e32 v24, v24, v28
	v_mul_f32_e32 v25, 0xbf75a155, v20
	v_mov_b32_e32 v28, v26
	v_fma_f32 v26, v7, s2, -v26
	v_add_f32_e32 v23, v23, v27
	v_mov_b32_e32 v27, v25
	v_fmac_f32_e32 v25, 0x3e903f40, v8
	v_fmac_f32_e32 v28, 0x3ed4b147, v7
	v_add_f32_e32 v26, v26, v30
	v_mul_f32_e32 v30, 0xbf0a6770, v9
	v_fmac_f32_e32 v27, 0xbe903f40, v8
	v_add_f32_e32 v25, v25, v29
	v_add_f32_e32 v28, v28, v32
	v_mul_f32_e32 v29, 0x3ed4b147, v20
	v_mov_b32_e32 v32, v30
	v_fma_f32 v30, v7, s4, -v30
	v_mul_f32_e32 v9, 0xbf4178ce, v9
	v_add_f32_e32 v27, v27, v31
	v_mov_b32_e32 v31, v29
	v_fmac_f32_e32 v29, 0x3f68dda4, v8
	v_add_f32_e32 v30, v30, v34
	v_mov_b32_e32 v34, v9
	v_fmac_f32_e32 v31, 0xbf68dda4, v8
	v_add_f32_e32 v29, v29, v33
	v_fmac_f32_e32 v32, 0x3f575c64, v7
	v_mul_f32_e32 v33, 0x3f575c64, v20
	v_fmac_f32_e32 v34, 0xbf27a4f4, v7
	v_mul_f32_e32 v20, 0xbf27a4f4, v20
	v_fma_f32 v7, v7, s5, -v9
	v_add_f32_e32 v31, v31, v35
	v_add_f32_e32 v32, v32, v36
	v_mov_b32_e32 v35, v33
	v_mov_b32_e32 v36, v20
	v_add_f32_e32 v3, v7, v3
	v_add_f32_e32 v7, v10, v16
	v_sub_f32_e32 v9, v10, v16
	v_sub_f32_e32 v10, v11, v17
	v_fmac_f32_e32 v35, 0x3f0a6770, v8
	v_fmac_f32_e32 v33, 0xbf0a6770, v8
	v_fmac_f32_e32 v36, 0x3f4178ce, v8
	v_fmac_f32_e32 v20, 0xbf4178ce, v8
	v_add_f32_e32 v8, v11, v17
	v_mul_f32_e32 v11, 0xbf4178ce, v10
	v_mov_b32_e32 v16, v11
	v_fmac_f32_e32 v16, 0xbf27a4f4, v7
	v_mul_f32_e32 v17, 0xbf27a4f4, v8
	v_fma_f32 v11, v7, s5, -v11
	v_add_f32_e32 v16, v16, v19
	v_mov_b32_e32 v19, v17
	v_add_f32_e32 v11, v11, v18
	v_fmac_f32_e32 v17, 0xbf4178ce, v9
	v_mul_f32_e32 v18, 0x3f7d64f0, v10
	v_add_f32_e32 v4, v20, v4
	v_fmac_f32_e32 v19, 0x3f4178ce, v9
	v_add_f32_e32 v17, v17, v21
	v_mov_b32_e32 v20, v18
	v_mul_f32_e32 v21, 0xbe11bafb, v8
	v_fma_f32 v18, v7, s3, -v18
	v_add_f32_e32 v19, v19, v23
	v_fmac_f32_e32 v20, 0xbe11bafb, v7
	v_mov_b32_e32 v23, v21
	v_add_f32_e32 v18, v18, v22
	v_fmac_f32_e32 v21, 0x3f7d64f0, v9
	v_mul_f32_e32 v22, 0xbf0a6770, v10
	v_add_f32_e32 v20, v20, v24
	v_fmac_f32_e32 v23, 0xbf7d64f0, v9
	v_add_f32_e32 v21, v21, v25
	v_mov_b32_e32 v24, v22
	v_mul_f32_e32 v25, 0x3f575c64, v8
	v_fma_f32 v22, v7, s4, -v22
	v_add_f32_e32 v23, v23, v27
	v_fmac_f32_e32 v24, 0x3f575c64, v7
	v_mov_b32_e32 v27, v25
	v_add_f32_e32 v22, v22, v26
	v_fmac_f32_e32 v25, 0xbf0a6770, v9
	v_mul_f32_e32 v26, 0xbe903f40, v10
	v_add_f32_e32 v24, v24, v28
	v_fmac_f32_e32 v27, 0x3f0a6770, v9
	v_add_f32_e32 v25, v25, v29
	v_mov_b32_e32 v28, v26
	v_mul_f32_e32 v29, 0xbf75a155, v8
	v_fma_f32 v26, v7, s10, -v26
	v_mul_f32_e32 v10, 0x3f68dda4, v10
	v_add_f32_e32 v38, v38, v42
	v_add_f32_e32 v37, v37, v41
	;; [unrolled: 1-line block ×3, first 2 shown]
	v_fmac_f32_e32 v28, 0xbf75a155, v7
	v_mov_b32_e32 v31, v29
	v_add_f32_e32 v26, v26, v30
	v_mov_b32_e32 v30, v10
	v_mul_f32_e32 v8, 0x3ed4b147, v8
	v_add_f32_e32 v40, v40, v44
	v_add_f32_e32 v35, v35, v38
	;; [unrolled: 1-line block ×4, first 2 shown]
	v_fmac_f32_e32 v31, 0x3e903f40, v9
	v_fmac_f32_e32 v29, 0xbe903f40, v9
	;; [unrolled: 1-line block ×3, first 2 shown]
	v_mov_b32_e32 v32, v8
	v_fma_f32 v7, v7, s2, -v10
	v_sub_f32_e32 v38, v13, v15
	v_add_f32_e32 v39, v39, v43
	v_add_f32_e32 v36, v36, v40
	;; [unrolled: 1-line block ×4, first 2 shown]
	v_fmac_f32_e32 v32, 0xbf68dda4, v9
	v_add_f32_e32 v33, v7, v3
	v_add_f32_e32 v35, v12, v14
	v_mul_f32_e32 v7, 0xbe903f40, v38
	v_add_f32_e32 v34, v34, v39
	v_add_f32_e32 v32, v32, v36
	v_fmac_f32_e32 v8, 0x3f68dda4, v9
	v_add_f32_e32 v36, v13, v15
	v_mov_b32_e32 v3, v7
	v_fma_f32 v7, v35, s10, -v7
	v_add_f32_e32 v30, v30, v34
	v_add_f32_e32 v34, v8, v4
	v_sub_f32_e32 v37, v12, v14
	v_mul_f32_e32 v8, 0xbf75a155, v36
	v_add_f32_e32 v7, v7, v11
	v_mul_f32_e32 v11, 0x3f0a6770, v38
	v_mul_f32_e32 v12, 0x3f575c64, v36
	;; [unrolled: 1-line block ×3, first 2 shown]
	v_mov_b32_e32 v4, v8
	v_mov_b32_e32 v9, v11
	;; [unrolled: 1-line block ×4, first 2 shown]
	v_fmac_f32_e32 v3, 0xbf75a155, v35
	v_fmac_f32_e32 v4, 0x3e903f40, v37
	;; [unrolled: 1-line block ×5, first 2 shown]
	v_add_f32_e32 v3, v3, v16
	v_add_f32_e32 v4, v4, v19
	v_fmac_f32_e32 v8, 0xbe903f40, v37
	v_add_f32_e32 v9, v9, v20
	v_add_f32_e32 v10, v10, v23
	v_fma_f32 v11, v35, s4, -v11
	v_fmac_f32_e32 v12, 0x3f0a6770, v37
	v_add_f32_e32 v13, v13, v24
	v_mul_f32_e32 v16, 0xbf27a4f4, v36
	v_fma_f32 v15, v35, s5, -v15
	v_mul_f32_e32 v19, 0x3f68dda4, v38
	v_mul_f32_e32 v20, 0x3ed4b147, v36
	;; [unrolled: 1-line block ×4, first 2 shown]
	v_add_f32_e32 v8, v8, v17
	v_add_f32_e32 v11, v11, v18
	;; [unrolled: 1-line block ×3, first 2 shown]
	v_mov_b32_e32 v14, v16
	v_add_f32_e32 v15, v15, v22
	v_mov_b32_e32 v17, v19
	v_mov_b32_e32 v18, v20
	;; [unrolled: 1-line block ×4, first 2 shown]
	v_fmac_f32_e32 v14, 0x3f4178ce, v37
	v_fmac_f32_e32 v16, 0xbf4178ce, v37
	v_fmac_f32_e32 v17, 0x3ed4b147, v35
	v_fmac_f32_e32 v18, 0xbf68dda4, v37
	v_fma_f32 v19, v35, s2, -v19
	v_fmac_f32_e32 v20, 0x3f68dda4, v37
	v_fmac_f32_e32 v21, 0xbe11bafb, v35
	;; [unrolled: 1-line block ×3, first 2 shown]
	v_fma_f32 v23, v35, s3, -v23
	v_fmac_f32_e32 v24, 0xbf7d64f0, v37
	v_add_f32_e32 v14, v14, v27
	v_add_f32_e32 v16, v16, v25
	;; [unrolled: 1-line block ×10, first 2 shown]
	ds_write2_b64 v83, v[5:6], v[3:4] offset1:44
	ds_write2_b64 v83, v[9:10], v[13:14] offset0:88 offset1:132
	ds_write2_b64 v83, v[17:18], v[21:22] offset0:176 offset1:220
	;; [unrolled: 1-line block ×4, first 2 shown]
	ds_write_b64 v83, v[7:8] offset:3520
	s_waitcnt lgkmcnt(0)
	; wave barrier
	s_waitcnt lgkmcnt(0)
	ds_read2_b64 v[3:6], v83 offset1:44
	v_mad_u64_u32 v[7:8], s[2:3], s11, v76, v[1:2]
	s_mov_b32 s2, 0x6be69c90
	s_mov_b32 s3, 0x3f60ecf5
	s_waitcnt lgkmcnt(0)
	v_mul_f32_e32 v1, v82, v4
	v_fmac_f32_e32 v1, v81, v3
	v_cvt_f64_f32_e32 v[8:9], v1
	v_mul_f32_e32 v1, v82, v3
	v_fma_f32 v1, v81, v4, -v1
	v_cvt_f64_f32_e32 v[3:4], v1
	v_mul_f64 v[8:9], v[8:9], s[2:3]
	v_mad_u64_u32 v[11:12], s[4:5], s8, v84, 0
	v_mul_f64 v[3:4], v[3:4], s[2:3]
	v_mov_b32_e32 v1, v7
	v_mov_b32_e32 v7, v12
	v_lshlrev_b64 v[0:1], 3, v[0:1]
	v_mov_b32_e32 v15, s7
	v_mad_u64_u32 v[12:13], s[4:5], s9, v84, v[7:8]
	v_cvt_f32_f64_e32 v13, v[8:9]
	ds_read2_b64 v[7:10], v83 offset0:121 offset1:165
	v_cvt_f32_f64_e32 v14, v[3:4]
	v_add_co_u32_e32 v16, vcc, s6, v0
	v_addc_co_u32_e32 v15, vcc, v15, v1, vcc
	s_waitcnt lgkmcnt(0)
	v_mul_f32_e32 v3, v80, v8
	v_fmac_f32_e32 v3, v79, v7
	v_mul_f32_e32 v7, v80, v7
	v_fma_f32 v7, v79, v8, -v7
	v_cvt_f64_f32_e32 v[3:4], v3
	v_cvt_f64_f32_e32 v[7:8], v7
	s_mul_i32 s4, s9, 0x79
	s_mul_hi_u32 s5, s8, 0x79
	v_mul_f64 v[0:1], v[3:4], s[2:3]
	v_mul_f64 v[3:4], v[7:8], s[2:3]
	v_lshlrev_b64 v[7:8], 3, v[11:12]
	s_add_i32 s5, s5, s4
	v_add_co_u32_e32 v7, vcc, v16, v7
	v_addc_co_u32_e32 v8, vcc, v15, v8, vcc
	v_cvt_f32_f64_e32 v0, v[0:1]
	v_cvt_f32_f64_e32 v1, v[3:4]
	v_add_u32_e32 v3, 0x400, v83
	global_store_dwordx2 v[7:8], v[13:14], off
	ds_read2_b64 v[11:14], v3 offset0:114 offset1:158
	ds_read2_b64 v[15:18], v2 offset0:107 offset1:151
	s_mul_i32 s4, s8, 0x79
	s_lshl_b64 s[4:5], s[4:5], 3
	v_mov_b32_e32 v19, s5
	s_waitcnt lgkmcnt(1)
	v_mul_f32_e32 v3, v75, v12
	v_fmac_f32_e32 v3, v74, v11
	v_cvt_f64_f32_e32 v[3:4], v3
	v_mul_f32_e32 v11, v75, v11
	v_fma_f32 v11, v74, v12, -v11
	v_cvt_f64_f32_e32 v[11:12], v11
	v_mul_f64 v[3:4], v[3:4], s[2:3]
	v_add_co_u32_e32 v7, vcc, s4, v7
	v_mul_f64 v[11:12], v[11:12], s[2:3]
	v_addc_co_u32_e32 v8, vcc, v8, v19, vcc
	global_store_dwordx2 v[7:8], v[0:1], off
	v_add_co_u32_e32 v7, vcc, s4, v7
	v_cvt_f32_f64_e32 v0, v[3:4]
	s_waitcnt lgkmcnt(0)
	v_mul_f32_e32 v3, v73, v16
	v_fmac_f32_e32 v3, v72, v15
	v_cvt_f64_f32_e32 v[3:4], v3
	v_cvt_f32_f64_e32 v1, v[11:12]
	v_mul_f32_e32 v11, v73, v15
	v_fma_f32 v11, v72, v16, -v11
	v_cvt_f64_f32_e32 v[11:12], v11
	v_mul_f64 v[3:4], v[3:4], s[2:3]
	v_mul_f32_e32 v15, v78, v6
	v_fmac_f32_e32 v15, v77, v5
	v_mul_f64 v[11:12], v[11:12], s[2:3]
	v_cvt_f64_f32_e32 v[15:16], v15
	v_addc_co_u32_e32 v8, vcc, v8, v19, vcc
	v_mul_f32_e32 v5, v78, v5
	global_store_dwordx2 v[7:8], v[0:1], off
	v_cvt_f32_f64_e32 v0, v[3:4]
	v_mul_f64 v[3:4], v[15:16], s[2:3]
	v_fma_f32 v5, v77, v6, -v5
	v_cvt_f64_f32_e32 v[5:6], v5
	v_cvt_f32_f64_e32 v1, v[11:12]
	v_add_co_u32_e32 v7, vcc, s4, v7
	v_mul_f64 v[5:6], v[5:6], s[2:3]
	v_addc_co_u32_e32 v8, vcc, v8, v19, vcc
	global_store_dwordx2 v[7:8], v[0:1], off
	v_cvt_f32_f64_e32 v0, v[3:4]
	v_mul_f32_e32 v3, v69, v10
	v_fmac_f32_e32 v3, v68, v9
	v_cvt_f64_f32_e32 v[3:4], v3
	v_cvt_f32_f64_e32 v1, v[5:6]
	v_mul_f32_e32 v5, v69, v9
	v_fma_f32 v5, v68, v10, -v5
	v_mul_f64 v[3:4], v[3:4], s[2:3]
	s_mul_hi_u32 s7, s8, 0xfffffec1
	v_cvt_f64_f32_e32 v[5:6], v5
	s_mul_i32 s6, s9, 0xfffffec1
	s_sub_i32 s7, s7, s8
	s_add_i32 s7, s7, s6
	s_mul_i32 s6, s8, 0xfffffec1
	s_lshl_b64 s[6:7], s[6:7], 3
	v_mul_f64 v[5:6], v[5:6], s[2:3]
	v_mov_b32_e32 v9, s7
	v_add_co_u32_e32 v7, vcc, s6, v7
	v_addc_co_u32_e32 v8, vcc, v8, v9, vcc
	global_store_dwordx2 v[7:8], v[0:1], off
	v_cvt_f32_f64_e32 v0, v[3:4]
	v_mul_f32_e32 v3, v71, v14
	v_fmac_f32_e32 v3, v70, v13
	v_cvt_f64_f32_e32 v[3:4], v3
	v_cvt_f32_f64_e32 v1, v[5:6]
	v_mul_f32_e32 v5, v71, v13
	v_fma_f32 v5, v70, v14, -v5
	v_mul_f64 v[3:4], v[3:4], s[2:3]
	v_cvt_f64_f32_e32 v[5:6], v5
	v_mul_f32_e32 v9, v67, v18
	v_mul_f32_e32 v11, v67, v17
	v_fmac_f32_e32 v9, v66, v17
	v_fma_f32 v11, v66, v18, -v11
	v_cvt_f64_f32_e32 v[9:10], v9
	v_cvt_f64_f32_e32 v[11:12], v11
	v_add_co_u32_e32 v7, vcc, s4, v7
	v_mul_f64 v[5:6], v[5:6], s[2:3]
	v_addc_co_u32_e32 v8, vcc, v8, v19, vcc
	global_store_dwordx2 v[7:8], v[0:1], off
	v_cvt_f32_f64_e32 v0, v[3:4]
	v_mul_f64 v[3:4], v[9:10], s[2:3]
	v_mul_f64 v[9:10], v[11:12], s[2:3]
	v_cvt_f32_f64_e32 v1, v[5:6]
	v_add_co_u32_e32 v5, vcc, s4, v7
	v_addc_co_u32_e32 v6, vcc, v8, v19, vcc
	v_cvt_f32_f64_e32 v3, v[3:4]
	v_cvt_f32_f64_e32 v4, v[9:10]
	global_store_dwordx2 v[5:6], v[0:1], off
	v_add_co_u32_e32 v0, vcc, s4, v5
	v_addc_co_u32_e32 v1, vcc, v6, v19, vcc
	global_store_dwordx2 v[0:1], v[3:4], off
	s_and_b64 exec, exec, s[0:1]
	s_cbranch_execz .LBB0_15
; %bb.14:
	global_load_dwordx2 v[11:12], v[64:65], off offset:704
	global_load_dwordx2 v[13:14], v[64:65], off offset:1672
	;; [unrolled: 1-line block ×4, first 2 shown]
	ds_read2_b64 v[3:6], v83 offset0:88 offset1:209
	ds_read2_b64 v[7:10], v2 offset0:74 offset1:195
	v_mov_b32_e32 v19, s7
	v_add_co_u32_e32 v0, vcc, s6, v0
	v_addc_co_u32_e32 v1, vcc, v1, v19, vcc
	v_mov_b32_e32 v24, s5
	v_add_co_u32_e32 v19, vcc, s4, v0
	v_addc_co_u32_e32 v20, vcc, v1, v24, vcc
	v_add_co_u32_e32 v21, vcc, s4, v19
	v_addc_co_u32_e32 v22, vcc, v20, v24, vcc
	;; [unrolled: 2-line block ×3, first 2 shown]
	s_waitcnt vmcnt(3) lgkmcnt(1)
	v_mul_f32_e32 v2, v4, v12
	v_mul_f32_e32 v12, v3, v12
	s_waitcnt vmcnt(2)
	v_mul_f32_e32 v25, v6, v14
	v_mul_f32_e32 v14, v5, v14
	v_fmac_f32_e32 v2, v3, v11
	v_fma_f32 v4, v11, v4, -v12
	s_waitcnt vmcnt(1) lgkmcnt(0)
	v_mul_f32_e32 v26, v8, v16
	v_mul_f32_e32 v16, v7, v16
	s_waitcnt vmcnt(0)
	v_mul_f32_e32 v27, v10, v18
	v_fmac_f32_e32 v25, v5, v13
	v_fma_f32 v11, v13, v6, -v14
	v_cvt_f64_f32_e32 v[2:3], v2
	v_cvt_f64_f32_e32 v[4:5], v4
	v_mul_f32_e32 v18, v9, v18
	v_fmac_f32_e32 v26, v7, v15
	v_fma_f32 v12, v15, v8, -v16
	v_fmac_f32_e32 v27, v9, v17
	v_cvt_f64_f32_e32 v[6:7], v25
	v_cvt_f64_f32_e32 v[8:9], v11
	v_fma_f32 v16, v17, v10, -v18
	v_cvt_f64_f32_e32 v[10:11], v26
	v_cvt_f64_f32_e32 v[12:13], v12
	;; [unrolled: 1-line block ×4, first 2 shown]
	v_mul_f64 v[2:3], v[2:3], s[2:3]
	v_mul_f64 v[4:5], v[4:5], s[2:3]
	v_mul_f64 v[6:7], v[6:7], s[2:3]
	v_mul_f64 v[8:9], v[8:9], s[2:3]
	v_mul_f64 v[10:11], v[10:11], s[2:3]
	v_mul_f64 v[12:13], v[12:13], s[2:3]
	v_mul_f64 v[14:15], v[14:15], s[2:3]
	v_mul_f64 v[16:17], v[16:17], s[2:3]
	v_cvt_f32_f64_e32 v2, v[2:3]
	v_cvt_f32_f64_e32 v3, v[4:5]
	;; [unrolled: 1-line block ×8, first 2 shown]
	global_store_dwordx2 v[0:1], v[2:3], off
	global_store_dwordx2 v[19:20], v[4:5], off
	;; [unrolled: 1-line block ×4, first 2 shown]
.LBB0_15:
	s_endpgm
	.section	.rodata,"a",@progbits
	.p2align	6, 0x0
	.amdhsa_kernel bluestein_single_back_len484_dim1_sp_op_CI_CI
		.amdhsa_group_segment_fixed_size 3872
		.amdhsa_private_segment_fixed_size 0
		.amdhsa_kernarg_size 104
		.amdhsa_user_sgpr_count 6
		.amdhsa_user_sgpr_private_segment_buffer 1
		.amdhsa_user_sgpr_dispatch_ptr 0
		.amdhsa_user_sgpr_queue_ptr 0
		.amdhsa_user_sgpr_kernarg_segment_ptr 1
		.amdhsa_user_sgpr_dispatch_id 0
		.amdhsa_user_sgpr_flat_scratch_init 0
		.amdhsa_user_sgpr_private_segment_size 0
		.amdhsa_uses_dynamic_stack 0
		.amdhsa_system_sgpr_private_segment_wavefront_offset 0
		.amdhsa_system_sgpr_workgroup_id_x 1
		.amdhsa_system_sgpr_workgroup_id_y 0
		.amdhsa_system_sgpr_workgroup_id_z 0
		.amdhsa_system_sgpr_workgroup_info 0
		.amdhsa_system_vgpr_workitem_id 0
		.amdhsa_next_free_vgpr 117
		.amdhsa_next_free_sgpr 18
		.amdhsa_reserve_vcc 1
		.amdhsa_reserve_flat_scratch 0
		.amdhsa_float_round_mode_32 0
		.amdhsa_float_round_mode_16_64 0
		.amdhsa_float_denorm_mode_32 3
		.amdhsa_float_denorm_mode_16_64 3
		.amdhsa_dx10_clamp 1
		.amdhsa_ieee_mode 1
		.amdhsa_fp16_overflow 0
		.amdhsa_exception_fp_ieee_invalid_op 0
		.amdhsa_exception_fp_denorm_src 0
		.amdhsa_exception_fp_ieee_div_zero 0
		.amdhsa_exception_fp_ieee_overflow 0
		.amdhsa_exception_fp_ieee_underflow 0
		.amdhsa_exception_fp_ieee_inexact 0
		.amdhsa_exception_int_div_zero 0
	.end_amdhsa_kernel
	.text
.Lfunc_end0:
	.size	bluestein_single_back_len484_dim1_sp_op_CI_CI, .Lfunc_end0-bluestein_single_back_len484_dim1_sp_op_CI_CI
                                        ; -- End function
	.section	.AMDGPU.csdata,"",@progbits
; Kernel info:
; codeLenInByte = 12712
; NumSgprs: 22
; NumVgprs: 117
; ScratchSize: 0
; MemoryBound: 0
; FloatMode: 240
; IeeeMode: 1
; LDSByteSize: 3872 bytes/workgroup (compile time only)
; SGPRBlocks: 2
; VGPRBlocks: 29
; NumSGPRsForWavesPerEU: 22
; NumVGPRsForWavesPerEU: 117
; Occupancy: 2
; WaveLimiterHint : 1
; COMPUTE_PGM_RSRC2:SCRATCH_EN: 0
; COMPUTE_PGM_RSRC2:USER_SGPR: 6
; COMPUTE_PGM_RSRC2:TRAP_HANDLER: 0
; COMPUTE_PGM_RSRC2:TGID_X_EN: 1
; COMPUTE_PGM_RSRC2:TGID_Y_EN: 0
; COMPUTE_PGM_RSRC2:TGID_Z_EN: 0
; COMPUTE_PGM_RSRC2:TIDIG_COMP_CNT: 0
	.type	__hip_cuid_93c9b4b11d5c2a2c,@object ; @__hip_cuid_93c9b4b11d5c2a2c
	.section	.bss,"aw",@nobits
	.globl	__hip_cuid_93c9b4b11d5c2a2c
__hip_cuid_93c9b4b11d5c2a2c:
	.byte	0                               ; 0x0
	.size	__hip_cuid_93c9b4b11d5c2a2c, 1

	.ident	"AMD clang version 19.0.0git (https://github.com/RadeonOpenCompute/llvm-project roc-6.4.0 25133 c7fe45cf4b819c5991fe208aaa96edf142730f1d)"
	.section	".note.GNU-stack","",@progbits
	.addrsig
	.addrsig_sym __hip_cuid_93c9b4b11d5c2a2c
	.amdgpu_metadata
---
amdhsa.kernels:
  - .args:
      - .actual_access:  read_only
        .address_space:  global
        .offset:         0
        .size:           8
        .value_kind:     global_buffer
      - .actual_access:  read_only
        .address_space:  global
        .offset:         8
        .size:           8
        .value_kind:     global_buffer
      - .actual_access:  read_only
        .address_space:  global
        .offset:         16
        .size:           8
        .value_kind:     global_buffer
      - .actual_access:  read_only
        .address_space:  global
        .offset:         24
        .size:           8
        .value_kind:     global_buffer
      - .actual_access:  read_only
        .address_space:  global
        .offset:         32
        .size:           8
        .value_kind:     global_buffer
      - .offset:         40
        .size:           8
        .value_kind:     by_value
      - .address_space:  global
        .offset:         48
        .size:           8
        .value_kind:     global_buffer
      - .address_space:  global
        .offset:         56
        .size:           8
        .value_kind:     global_buffer
      - .address_space:  global
        .offset:         64
        .size:           8
        .value_kind:     global_buffer
      - .address_space:  global
        .offset:         72
        .size:           8
        .value_kind:     global_buffer
      - .offset:         80
        .size:           4
        .value_kind:     by_value
      - .address_space:  global
        .offset:         88
        .size:           8
        .value_kind:     global_buffer
      - .address_space:  global
        .offset:         96
        .size:           8
        .value_kind:     global_buffer
    .group_segment_fixed_size: 3872
    .kernarg_segment_align: 8
    .kernarg_segment_size: 104
    .language:       OpenCL C
    .language_version:
      - 2
      - 0
    .max_flat_workgroup_size: 44
    .name:           bluestein_single_back_len484_dim1_sp_op_CI_CI
    .private_segment_fixed_size: 0
    .sgpr_count:     22
    .sgpr_spill_count: 0
    .symbol:         bluestein_single_back_len484_dim1_sp_op_CI_CI.kd
    .uniform_work_group_size: 1
    .uses_dynamic_stack: false
    .vgpr_count:     117
    .vgpr_spill_count: 0
    .wavefront_size: 64
amdhsa.target:   amdgcn-amd-amdhsa--gfx906
amdhsa.version:
  - 1
  - 2
...

	.end_amdgpu_metadata
